;; amdgpu-corpus repo=ROCm/rocFFT kind=compiled arch=gfx906 opt=O3
	.text
	.amdgcn_target "amdgcn-amd-amdhsa--gfx906"
	.amdhsa_code_object_version 6
	.protected	bluestein_single_back_len884_dim1_half_op_CI_CI ; -- Begin function bluestein_single_back_len884_dim1_half_op_CI_CI
	.globl	bluestein_single_back_len884_dim1_half_op_CI_CI
	.p2align	8
	.type	bluestein_single_back_len884_dim1_half_op_CI_CI,@function
bluestein_single_back_len884_dim1_half_op_CI_CI: ; @bluestein_single_back_len884_dim1_half_op_CI_CI
; %bb.0:
	v_mul_u32_u24_e32 v1, 0x3c4, v0
	s_mov_b64 s[42:43], s[2:3]
	s_load_dwordx4 s[8:11], s[4:5], 0x28
	v_lshrrev_b32_e32 v1, 16, v1
	s_mov_b64 s[40:41], s[0:1]
	v_mad_u64_u32 v[28:29], s[0:1], s6, 3, v[1:2]
	v_mov_b32_e32 v29, 0
	s_add_u32 s40, s40, s7
	s_waitcnt lgkmcnt(0)
	v_cmp_gt_u64_e32 vcc, s[8:9], v[28:29]
	s_addc_u32 s41, s41, 0
	s_and_saveexec_b64 s[0:1], vcc
	s_cbranch_execz .LBB0_18
; %bb.1:
	s_load_dwordx4 s[16:19], s[4:5], 0x18
	s_load_dwordx4 s[12:15], s[4:5], 0x0
	v_mul_lo_u16_e32 v1, 0x44, v1
	v_sub_u16_e32 v59, v0, v1
	v_lshlrev_b32_e32 v63, 2, v59
	s_waitcnt lgkmcnt(0)
	s_load_dwordx4 s[0:3], s[16:17], 0x0
	global_load_dword v61, v63, s[12:13]
	s_mov_b32 s23, 0xbbf1
	s_mov_b32 s16, 0xb94e
	;; [unrolled: 1-line block ×3, first 2 shown]
	s_waitcnt lgkmcnt(0)
	v_mad_u64_u32 v[0:1], s[6:7], s2, v28, 0
	v_mad_u64_u32 v[2:3], s[6:7], s0, v59, 0
	s_mov_b32 s22, 0xba95
	s_mov_b32 s20, 0xbbc4
	v_mad_u64_u32 v[4:5], s[2:3], s3, v28, v[1:2]
	s_mov_b32 s21, 0x2fb7bbc4
	s_mov_b32 s24, 0xb5acb9fd
	v_mad_u64_u32 v[5:6], s[2:3], s1, v59, v[3:4]
	v_mov_b32_e32 v1, v4
	v_lshlrev_b64 v[0:1], 2, v[0:1]
	v_mov_b32_e32 v6, s11
	v_mov_b32_e32 v3, v5
	v_add_co_u32_e32 v4, vcc, s10, v0
	v_addc_co_u32_e32 v5, vcc, v6, v1, vcc
	v_lshlrev_b64 v[0:1], 2, v[2:3]
	s_mov_b32 s2, 0xaaaaaaab
	v_add_co_u32_e32 v0, vcc, v4, v0
	v_mul_hi_u32 v3, v28, s2
	s_mulk_i32 s1, 0x110
	s_mul_hi_u32 s2, s0, 0x110
	v_addc_co_u32_e32 v1, vcc, v5, v1, vcc
	s_mulk_i32 s0, 0x110
	s_add_i32 s1, s2, s1
	global_load_dword v2, v[0:1], off
	v_mov_b32_e32 v4, s1
	v_add_co_u32_e32 v0, vcc, s0, v0
	v_addc_co_u32_e32 v1, vcc, v1, v4, vcc
	s_load_dwordx2 s[6:7], s[4:5], 0x38
	s_load_dwordx4 s[8:11], s[18:19], 0x0
	global_load_dword v60, v63, s[12:13] offset:272
	global_load_dword v58, v63, s[12:13] offset:544
	;; [unrolled: 1-line block ×8, first 2 shown]
	global_load_dword v4, v[0:1], off
	v_mov_b32_e32 v5, s1
	v_add_co_u32_e32 v0, vcc, s0, v0
	v_addc_co_u32_e32 v1, vcc, v1, v5, vcc
	global_load_dword v5, v[0:1], off
	v_lshrrev_b32_e32 v3, 1, v3
	v_mov_b32_e32 v6, s1
	v_add_co_u32_e32 v0, vcc, s0, v0
	v_lshl_add_u32 v3, v3, 1, v3
	v_addc_co_u32_e32 v1, vcc, v1, v6, vcc
	v_sub_u32_e32 v3, v28, v3
	global_load_dword v6, v[0:1], off
	v_mul_u32_u24_e32 v3, 0x374, v3
	v_lshlrev_b32_e32 v171, 2, v3
	v_mov_b32_e32 v3, s1
	v_add_co_u32_e32 v0, vcc, s0, v0
	v_addc_co_u32_e32 v1, vcc, v1, v3, vcc
	global_load_dword v3, v[0:1], off
	v_mov_b32_e32 v7, s1
	v_add_co_u32_e32 v0, vcc, s0, v0
	v_addc_co_u32_e32 v1, vcc, v1, v7, vcc
	global_load_dword v7, v[0:1], off
	;; [unrolled: 4-line block ×6, first 2 shown]
	global_load_dword v51, v63, s[12:13] offset:2448
	v_mov_b32_e32 v14, s1
	v_add_co_u32_e32 v0, vcc, s0, v0
	v_addc_co_u32_e32 v1, vcc, v1, v14, vcc
	global_load_dword v14, v[0:1], off
	global_load_dword v50, v63, s[12:13] offset:2720
	v_mov_b32_e32 v15, s1
	v_add_co_u32_e32 v0, vcc, s0, v0
	v_addc_co_u32_e32 v1, vcc, v1, v15, vcc
	global_load_dword v15, v[0:1], off
	;; [unrolled: 5-line block ×3, first 2 shown]
	global_load_dword v47, v63, s[12:13] offset:3264
	s_waitcnt vmcnt(24)
	v_lshrrev_b32_e32 v12, 16, v2
	v_mul_f16_sdwa v13, v61, v12 dst_sel:DWORD dst_unused:UNUSED_PAD src0_sel:WORD_1 src1_sel:DWORD
	v_fma_f16 v13, v61, v2, v13
	v_mul_f16_sdwa v0, v61, v2 dst_sel:DWORD dst_unused:UNUSED_PAD src0_sel:WORD_1 src1_sel:DWORD
	v_fma_f16 v0, v61, v12, -v0
	v_add_u32_e32 v49, v63, v171
	v_pack_b32_f16 v0, v13, v0
	s_mov_b32 s0, 0xb770
	s_waitcnt vmcnt(15)
	v_lshrrev_b32_e32 v1, 16, v4
	v_mul_f16_sdwa v2, v60, v1 dst_sel:DWORD dst_unused:UNUSED_PAD src0_sel:WORD_1 src1_sel:DWORD
	v_fma_f16 v2, v60, v4, v2
	v_mul_f16_sdwa v4, v60, v4 dst_sel:DWORD dst_unused:UNUSED_PAD src0_sel:WORD_1 src1_sel:DWORD
	v_fma_f16 v1, v60, v1, -v4
	v_pack_b32_f16 v1, v2, v1
	ds_write2_b32 v49, v0, v1 offset1:68
	s_waitcnt vmcnt(14)
	v_lshrrev_b32_e32 v0, 16, v5
	v_mul_f16_sdwa v1, v58, v0 dst_sel:DWORD dst_unused:UNUSED_PAD src0_sel:WORD_1 src1_sel:DWORD
	v_mul_f16_sdwa v2, v58, v5 dst_sel:DWORD dst_unused:UNUSED_PAD src0_sel:WORD_1 src1_sel:DWORD
	v_fma_f16 v1, v58, v5, v1
	v_fma_f16 v0, v58, v0, -v2
	v_pack_b32_f16 v0, v1, v0
	s_movk_i32 s1, 0x3b15
	s_movk_i32 s3, 0x388b
	s_waitcnt vmcnt(13)
	v_lshrrev_b32_e32 v1, 16, v6
	v_mul_f16_sdwa v2, v57, v1 dst_sel:DWORD dst_unused:UNUSED_PAD src0_sel:WORD_1 src1_sel:DWORD
	v_mul_f16_sdwa v4, v57, v6 dst_sel:DWORD dst_unused:UNUSED_PAD src0_sel:WORD_1 src1_sel:DWORD
	v_fma_f16 v2, v57, v6, v2
	v_fma_f16 v1, v57, v1, -v4
	v_pack_b32_f16 v1, v2, v1
	ds_write2_b32 v49, v0, v1 offset0:136 offset1:204
	s_movk_i32 s2, 0x2fb7
	s_waitcnt vmcnt(12)
	v_lshrrev_b32_e32 v0, 16, v3
	v_mul_f16_sdwa v1, v56, v0 dst_sel:DWORD dst_unused:UNUSED_PAD src0_sel:WORD_1 src1_sel:DWORD
	v_mul_f16_sdwa v2, v56, v3 dst_sel:DWORD dst_unused:UNUSED_PAD src0_sel:WORD_1 src1_sel:DWORD
	v_fma_f16 v1, v56, v3, v1
	v_fma_f16 v0, v56, v0, -v2
	v_pack_b32_f16 v0, v1, v0
	s_waitcnt vmcnt(11)
	v_lshrrev_b32_e32 v1, 16, v7
	v_mul_f16_sdwa v2, v55, v1 dst_sel:DWORD dst_unused:UNUSED_PAD src0_sel:WORD_1 src1_sel:DWORD
	v_mul_f16_sdwa v3, v55, v7 dst_sel:DWORD dst_unused:UNUSED_PAD src0_sel:WORD_1 src1_sel:DWORD
	v_fma_f16 v2, v55, v7, v2
	v_fma_f16 v1, v55, v1, -v3
	v_pack_b32_f16 v1, v2, v1
	v_add_u32_e32 v7, 0x400, v49
	ds_write2_b32 v7, v0, v1 offset0:16 offset1:84
	s_waitcnt vmcnt(10)
	v_lshrrev_b32_e32 v0, 16, v8
	v_mul_f16_sdwa v1, v54, v0 dst_sel:DWORD dst_unused:UNUSED_PAD src0_sel:WORD_1 src1_sel:DWORD
	v_mul_f16_sdwa v2, v54, v8 dst_sel:DWORD dst_unused:UNUSED_PAD src0_sel:WORD_1 src1_sel:DWORD
	v_fma_f16 v1, v54, v8, v1
	v_fma_f16 v0, v54, v0, -v2
	v_pack_b32_f16 v0, v1, v0
	s_waitcnt vmcnt(9)
	v_lshrrev_b32_e32 v1, 16, v9
	v_mul_f16_sdwa v2, v53, v1 dst_sel:DWORD dst_unused:UNUSED_PAD src0_sel:WORD_1 src1_sel:DWORD
	v_mul_f16_sdwa v3, v53, v9 dst_sel:DWORD dst_unused:UNUSED_PAD src0_sel:WORD_1 src1_sel:DWORD
	v_fma_f16 v2, v53, v9, v2
	v_fma_f16 v1, v53, v1, -v3
	v_pack_b32_f16 v1, v2, v1
	ds_write2_b32 v7, v0, v1 offset0:152 offset1:220
	s_waitcnt vmcnt(8)
	v_lshrrev_b32_e32 v0, 16, v10
	v_mul_f16_sdwa v1, v52, v0 dst_sel:DWORD dst_unused:UNUSED_PAD src0_sel:WORD_1 src1_sel:DWORD
	v_mul_f16_sdwa v2, v52, v10 dst_sel:DWORD dst_unused:UNUSED_PAD src0_sel:WORD_1 src1_sel:DWORD
	v_fma_f16 v1, v52, v10, v1
	v_fma_f16 v0, v52, v0, -v2
	v_pack_b32_f16 v0, v1, v0
	s_waitcnt vmcnt(7)
	v_lshrrev_b32_e32 v1, 16, v11
	s_waitcnt vmcnt(6)
	v_mul_f16_sdwa v2, v51, v1 dst_sel:DWORD dst_unused:UNUSED_PAD src0_sel:WORD_1 src1_sel:DWORD
	v_mul_f16_sdwa v3, v51, v11 dst_sel:DWORD dst_unused:UNUSED_PAD src0_sel:WORD_1 src1_sel:DWORD
	v_fma_f16 v2, v51, v11, v2
	v_fma_f16 v1, v51, v1, -v3
	v_pack_b32_f16 v1, v2, v1
	v_add_u32_e32 v8, 0x800, v49
	ds_write2_b32 v8, v0, v1 offset0:32 offset1:100
	s_waitcnt vmcnt(5)
	v_lshrrev_b32_e32 v0, 16, v14
	s_waitcnt vmcnt(4)
	v_mul_f16_sdwa v1, v50, v0 dst_sel:DWORD dst_unused:UNUSED_PAD src0_sel:WORD_1 src1_sel:DWORD
	v_mul_f16_sdwa v2, v50, v14 dst_sel:DWORD dst_unused:UNUSED_PAD src0_sel:WORD_1 src1_sel:DWORD
	v_fma_f16 v1, v50, v14, v1
	v_fma_f16 v0, v50, v0, -v2
	v_pack_b32_f16 v0, v1, v0
	s_waitcnt vmcnt(3)
	v_lshrrev_b32_e32 v1, 16, v15
	s_waitcnt vmcnt(2)
	v_mul_f16_sdwa v2, v48, v1 dst_sel:DWORD dst_unused:UNUSED_PAD src0_sel:WORD_1 src1_sel:DWORD
	v_mul_f16_sdwa v3, v48, v15 dst_sel:DWORD dst_unused:UNUSED_PAD src0_sel:WORD_1 src1_sel:DWORD
	v_fma_f16 v2, v48, v15, v2
	v_fma_f16 v1, v48, v1, -v3
	v_pack_b32_f16 v1, v2, v1
	ds_write2_b32 v8, v0, v1 offset0:168 offset1:236
	s_waitcnt vmcnt(1)
	v_lshrrev_b32_e32 v0, 16, v16
	s_waitcnt vmcnt(0)
	v_mul_f16_sdwa v1, v47, v0 dst_sel:DWORD dst_unused:UNUSED_PAD src0_sel:WORD_1 src1_sel:DWORD
	v_mul_f16_sdwa v2, v47, v16 dst_sel:DWORD dst_unused:UNUSED_PAD src0_sel:WORD_1 src1_sel:DWORD
	v_fma_f16 v1, v47, v16, v1
	v_fma_f16 v0, v47, v0, -v2
	v_pack_b32_f16 v0, v1, v0
	ds_write_b32 v49, v0 offset:3264
	v_mul_lo_u16_e32 v0, 13, v59
	s_waitcnt lgkmcnt(0)
	s_barrier
	v_lshl_add_u32 v64, v0, 2, v171
	ds_read2_b32 v[12:13], v49 offset0:136 offset1:204
	ds_read2_b32 v[19:20], v7 offset0:16 offset1:84
	ds_read2_b32 v[0:1], v49 offset1:68
	ds_read2_b32 v[2:3], v7 offset0:152 offset1:220
	ds_read2_b32 v[21:22], v8 offset0:32 offset1:100
	;; [unrolled: 1-line block ×3, first 2 shown]
	ds_read_b32 v4, v49 offset:3264
	s_waitcnt lgkmcnt(4)
	v_pk_add_f16 v5, v0, v1
	v_pk_add_f16 v5, v5, v12
	;; [unrolled: 1-line block ×5, first 2 shown]
	s_waitcnt lgkmcnt(3)
	v_pk_add_f16 v5, v5, v2
	v_pk_add_f16 v5, v5, v3
	s_waitcnt lgkmcnt(2)
	v_pk_add_f16 v5, v5, v21
	v_pk_add_f16 v5, v5, v22
	;; [unrolled: 3-line block ×4, first 2 shown]
	v_pk_add_f16 v4, v1, v4 neg_lo:[0,1] neg_hi:[0,1]
	v_mul_f16_sdwa v1, v4, s0 dst_sel:DWORD dst_unused:UNUSED_PAD src0_sel:WORD_1 src1_sel:DWORD
	v_fma_f16 v9, v5, s1, -v1
	s_mov_b32 s0, 0x3b15388b
	v_add_f16_e32 v11, v0, v9
	v_pk_mul_f16 v9, v5, s0
	s_mov_b32 s0, 0xba95b770
	v_pk_fma_f16 v14, v4, s0, v9 op_sel:[0,0,1] op_sel_hi:[1,1,0] neg_lo:[1,0,0] neg_hi:[1,0,0]
	v_pk_fma_f16 v9, v4, s0, v9 op_sel:[0,0,1] op_sel_hi:[1,1,0]
	s_mov_b32 s0, 0xffff
	v_bfi_b32 v10, s0, v9, v14
	v_pk_add_f16 v18, v0, v10 op_sel:[1,0] op_sel_hi:[0,1]
	v_lshrrev_b32_e32 v10, 16, v5
	v_mul_f16_e32 v15, 0xba95, v4
	v_pk_add_f16 v24, v0, v9 op_sel:[1,0] op_sel_hi:[0,1]
	v_fma_f16 v9, v10, s3, -v15
	v_add_f16_sdwa v25, v0, v9 dst_sel:DWORD dst_unused:UNUSED_PAD src0_sel:WORD_1 src1_sel:DWORD
	v_mul_f16_sdwa v9, v4, s23 dst_sel:DWORD dst_unused:UNUSED_PAD src0_sel:WORD_1 src1_sel:DWORD
	v_fma_f16 v23, v10, s3, v15
	v_fma_f16 v15, v5, s2, -v9
	v_add_f16_e32 v26, v0, v15
	v_mul_f16_e32 v15, 0xbbf1, v4
	v_fma_f16 v9, v5, s2, v9
	v_add_f16_e32 v29, v0, v9
	v_fma_f16 v9, v10, s2, -v15
	s_mov_b32 s4, 0xbb7b
	v_add_f16_sdwa v30, v0, v9 dst_sel:DWORD dst_unused:UNUSED_PAD src0_sel:WORD_1 src1_sel:DWORD
	v_mul_f16_sdwa v9, v4, s4 dst_sel:DWORD dst_unused:UNUSED_PAD src0_sel:WORD_1 src1_sel:DWORD
	s_mov_b32 s5, 0xb5ac
	v_fma_f16 v27, v10, s2, v15
	v_fma_f16 v15, v5, s5, -v9
	v_add_f16_e32 v31, v0, v15
	v_mul_f16_e32 v15, 0xbb7b, v4
	v_fma_f16 v9, v5, s5, v9
	v_add_f16_e32 v33, v0, v9
	v_fma_f16 v9, v10, s5, -v15
	v_add_f16_sdwa v34, v0, v9 dst_sel:DWORD dst_unused:UNUSED_PAD src0_sel:WORD_1 src1_sel:DWORD
	v_mul_f16_sdwa v9, v4, s16 dst_sel:DWORD dst_unused:UNUSED_PAD src0_sel:WORD_1 src1_sel:DWORD
	v_fma_f16 v32, v10, s5, v15
	v_fma_f16 v15, v5, s17, -v9
	v_add_f16_e32 v35, v0, v15
	v_mul_f16_e32 v15, 0xb94e, v4
	v_fma_f16 v9, v5, s17, v9
	v_add_f16_e32 v37, v0, v9
	v_fma_f16 v9, v10, s17, -v15
	v_add_f16_sdwa v38, v0, v9 dst_sel:DWORD dst_unused:UNUSED_PAD src0_sel:WORD_1 src1_sel:DWORD
	v_pk_add_f16 v9, v12, v17 neg_lo:[0,1] neg_hi:[0,1]
	v_fma_f16 v36, v10, s17, v15
	v_pk_add_f16 v10, v17, v12
	v_mul_f16_sdwa v12, v9, s22 dst_sel:DWORD dst_unused:UNUSED_PAD src0_sel:WORD_1 src1_sel:DWORD
	v_fma_f16 v1, v5, s1, v1
	v_fma_f16 v15, v10, s3, -v12
	v_add_f16_e32 v1, v0, v1
	v_add_f16_e32 v17, v15, v11
	v_fma_f16 v11, v10, s3, v12
	s_mov_b32 s18, 0x388bb5ac
	v_add_f16_e32 v1, v11, v1
	v_pk_mul_f16 v11, v10, s18
	s_mov_b32 s18, 0xbb7bba95
	v_pk_fma_f16 v15, v9, s18, v11 op_sel:[0,0,1] op_sel_hi:[1,1,0] neg_lo:[1,0,0] neg_hi:[1,0,0]
	v_pk_fma_f16 v11, v9, s18, v11 op_sel:[0,0,1] op_sel_hi:[1,1,0]
	v_bfi_b32 v12, s0, v11, v15
	v_pk_add_f16 v18, v12, v18
	v_lshrrev_b32_e32 v12, 16, v10
	v_mul_f16_e32 v39, 0xbb7b, v9
	v_pk_add_f16 v24, v11, v24
	v_fma_f16 v11, v12, s5, -v39
	s_mov_b32 s19, 0xb3a8
	v_add_f16_e32 v25, v11, v25
	v_mul_f16_sdwa v11, v9, s19 dst_sel:DWORD dst_unused:UNUSED_PAD src0_sel:WORD_1 src1_sel:DWORD
	v_fma_f16 v40, v12, s5, v39
	v_fma_f16 v39, v10, s20, -v11
	v_add_f16_e32 v26, v39, v26
	v_mul_f16_e32 v39, 0xb3a8, v9
	v_fma_f16 v11, v10, s20, v11
	v_add_f16_e32 v29, v11, v29
	v_fma_f16 v11, v12, s20, -v39
	s_movk_i32 s18, 0x394e
	v_add_f16_sdwa v23, v0, v23 dst_sel:DWORD dst_unused:UNUSED_PAD src0_sel:WORD_1 src1_sel:DWORD
	v_add_f16_e32 v30, v11, v30
	v_mul_f16_sdwa v11, v9, s18 dst_sel:DWORD dst_unused:UNUSED_PAD src0_sel:WORD_1 src1_sel:DWORD
	v_add_f16_e32 v23, v40, v23
	v_fma_f16 v40, v12, s20, v39
	v_fma_f16 v39, v10, s17, -v11
	v_add_f16_e32 v31, v39, v31
	v_mul_f16_e32 v39, 0x394e, v9
	v_fma_f16 v11, v10, s17, v11
	v_add_f16_e32 v33, v11, v33
	v_fma_f16 v11, v12, s17, -v39
	s_movk_i32 s18, 0x3bf1
	v_add_f16_sdwa v27, v0, v27 dst_sel:DWORD dst_unused:UNUSED_PAD src0_sel:WORD_1 src1_sel:DWORD
	v_add_f16_e32 v34, v11, v34
	v_mul_f16_sdwa v11, v9, s18 dst_sel:DWORD dst_unused:UNUSED_PAD src0_sel:WORD_1 src1_sel:DWORD
	v_add_f16_e32 v27, v40, v27
	v_fma_f16 v40, v12, s17, v39
	v_fma_f16 v39, v10, s2, -v11
	v_add_f16_e32 v35, v39, v35
	v_mul_f16_e32 v39, 0x3bf1, v9
	v_fma_f16 v11, v10, s2, v11
	v_add_f16_e32 v37, v11, v37
	v_fma_f16 v11, v12, s2, -v39
	v_add_f16_sdwa v32, v0, v32 dst_sel:DWORD dst_unused:UNUSED_PAD src0_sel:WORD_1 src1_sel:DWORD
	v_add_f16_e32 v38, v11, v38
	v_pk_add_f16 v11, v13, v16 neg_lo:[0,1] neg_hi:[0,1]
	v_add_f16_e32 v32, v40, v32
	v_fma_f16 v40, v12, s2, v39
	v_pk_add_f16 v12, v16, v13
	v_mul_f16_sdwa v13, v11, s23 dst_sel:DWORD dst_unused:UNUSED_PAD src0_sel:WORD_1 src1_sel:DWORD
	v_fma_f16 v16, v12, s2, -v13
	v_fma_f16 v13, v12, s2, v13
	v_add_f16_e32 v1, v13, v1
	v_pk_mul_f16 v13, v12, s21
	s_mov_b32 s21, 0xb3a8bbf1
	v_pk_fma_f16 v39, v11, s21, v13 op_sel:[0,0,1] op_sel_hi:[1,1,0] neg_lo:[1,0,0] neg_hi:[1,0,0]
	v_pk_fma_f16 v13, v11, s21, v13 op_sel:[0,0,1] op_sel_hi:[1,1,0]
	v_add_f16_sdwa v36, v0, v36 dst_sel:DWORD dst_unused:UNUSED_PAD src0_sel:WORD_1 src1_sel:DWORD
	v_add_f16_e32 v16, v16, v17
	v_bfi_b32 v17, s0, v13, v39
	v_add_f16_e32 v36, v40, v36
	v_pk_add_f16 v40, v17, v18
	v_lshrrev_b32_e32 v17, 16, v12
	v_mul_f16_e32 v18, 0xb3a8, v11
	v_fma_f16 v41, v17, s20, v18
	v_fma_f16 v18, v17, s20, -v18
	s_movk_i32 s21, 0x3b7b
	v_pk_add_f16 v13, v13, v24
	v_add_f16_e32 v24, v18, v25
	v_mul_f16_sdwa v18, v11, s21 dst_sel:DWORD dst_unused:UNUSED_PAD src0_sel:WORD_1 src1_sel:DWORD
	v_fma_f16 v25, v12, s5, -v18
	v_add_f16_e32 v25, v25, v26
	v_mul_f16_e32 v26, 0x3b7b, v11
	v_fma_f16 v18, v12, s5, v18
	v_add_f16_e32 v29, v18, v29
	v_fma_f16 v18, v17, s5, -v26
	s_movk_i32 s21, 0x3770
	v_add_f16_e32 v23, v41, v23
	v_fma_f16 v41, v17, s5, v26
	v_add_f16_e32 v26, v18, v30
	v_mul_f16_sdwa v18, v11, s21 dst_sel:DWORD dst_unused:UNUSED_PAD src0_sel:WORD_1 src1_sel:DWORD
	v_fma_f16 v30, v12, s1, -v18
	v_add_f16_e32 v30, v30, v31
	v_mul_f16_e32 v31, 0x3770, v11
	v_fma_f16 v18, v12, s1, v18
	v_add_f16_e32 v33, v18, v33
	v_fma_f16 v18, v17, s1, -v31
	v_add_f16_e32 v27, v41, v27
	v_fma_f16 v41, v17, s1, v31
	v_add_f16_e32 v31, v18, v34
	v_mul_f16_sdwa v18, v11, s22 dst_sel:DWORD dst_unused:UNUSED_PAD src0_sel:WORD_1 src1_sel:DWORD
	v_fma_f16 v34, v12, s3, -v18
	v_add_f16_e32 v34, v34, v35
	v_mul_f16_e32 v35, 0xba95, v11
	v_add_f16_e32 v32, v41, v32
	v_fma_f16 v41, v17, s3, v35
	v_fma_f16 v17, v17, s3, -v35
	v_fma_f16 v18, v12, s3, v18
	v_add_f16_e32 v35, v17, v38
	v_pk_add_f16 v17, v19, v22 neg_lo:[0,1] neg_hi:[0,1]
	v_add_f16_e32 v37, v18, v37
	v_pk_add_f16 v18, v22, v19
	v_mul_f16_sdwa v19, v17, s4 dst_sel:DWORD dst_unused:UNUSED_PAD src0_sel:WORD_1 src1_sel:DWORD
	v_fma_f16 v22, v18, s5, -v19
	v_add_f16_e32 v22, v22, v16
	v_fma_f16 v16, v18, s5, v19
	v_add_f16_e32 v1, v16, v1
	v_pk_mul_f16 v16, v18, s24
	s_mov_b32 s24, 0x394ebb7b
	v_pk_fma_f16 v19, v17, s24, v16 op_sel:[0,0,1] op_sel_hi:[1,1,0] neg_lo:[1,0,0] neg_hi:[1,0,0]
	v_pk_fma_f16 v16, v17, s24, v16 op_sel:[0,0,1] op_sel_hi:[1,1,0]
	v_bfi_b32 v38, s0, v16, v19
	v_add_f16_e32 v36, v41, v36
	v_pk_add_f16 v38, v38, v40
	v_lshrrev_b32_e32 v40, 16, v18
	v_mul_f16_e32 v41, 0x394e, v17
	v_pk_add_f16 v13, v16, v13
	v_fma_f16 v16, v40, s17, -v41
	v_add_f16_e32 v24, v16, v24
	v_mul_f16_sdwa v16, v17, s21 dst_sel:DWORD dst_unused:UNUSED_PAD src0_sel:WORD_1 src1_sel:DWORD
	v_fma_f16 v42, v40, s17, v41
	v_fma_f16 v41, v18, s1, -v16
	v_add_f16_e32 v25, v41, v25
	v_mul_f16_e32 v41, 0x3770, v17
	v_fma_f16 v16, v18, s1, v16
	v_add_f16_e32 v29, v16, v29
	v_fma_f16 v16, v40, s1, -v41
	v_add_f16_e32 v16, v16, v26
	v_mul_f16_sdwa v26, v17, s23 dst_sel:DWORD dst_unused:UNUSED_PAD src0_sel:WORD_1 src1_sel:DWORD
	v_add_f16_e32 v23, v42, v23
	v_fma_f16 v42, v40, s1, v41
	v_fma_f16 v41, v18, s2, -v26
	v_add_f16_e32 v30, v41, v30
	v_mul_f16_e32 v41, 0xbbf1, v17
	v_fma_f16 v26, v18, s2, v26
	v_add_f16_e32 v26, v26, v33
	v_fma_f16 v33, v40, s2, -v41
	s_movk_i32 s23, 0x33a8
	v_add_f16_e32 v31, v33, v31
	v_mul_f16_sdwa v33, v17, s23 dst_sel:DWORD dst_unused:UNUSED_PAD src0_sel:WORD_1 src1_sel:DWORD
	v_add_f16_e32 v27, v42, v27
	v_fma_f16 v42, v40, s2, v41
	v_fma_f16 v41, v18, s20, -v33
	v_add_f16_e32 v34, v41, v34
	v_mul_f16_e32 v41, 0x33a8, v17
	v_fma_f16 v33, v18, s20, v33
	v_add_f16_e32 v33, v33, v37
	v_fma_f16 v37, v40, s20, -v41
	v_add_f16_e32 v35, v37, v35
	v_pk_add_f16 v37, v21, v20
	v_pk_add_f16 v20, v20, v21 neg_lo:[0,1] neg_hi:[0,1]
	v_mul_f16_sdwa v21, v20, s16 dst_sel:DWORD dst_unused:UNUSED_PAD src0_sel:WORD_1 src1_sel:DWORD
	v_add_f16_e32 v32, v42, v32
	v_fma_f16 v42, v40, s20, v41
	v_fma_f16 v40, v37, s17, -v21
	v_fma_f16 v21, v37, s17, v21
	s_mov_b32 s24, 0xb9fd2fb7
	v_add_f16_e32 v1, v21, v1
	v_pk_mul_f16 v21, v37, s24
	s_mov_b32 s24, 0x3bf1b94e
	v_add_f16_e32 v22, v40, v22
	v_pk_fma_f16 v40, v20, s24, v21 op_sel:[0,0,1] op_sel_hi:[1,1,0] neg_lo:[1,0,0] neg_hi:[1,0,0]
	v_pk_fma_f16 v21, v20, s24, v21 op_sel:[0,0,1] op_sel_hi:[1,1,0]
	v_bfi_b32 v41, s0, v21, v40
	v_add_f16_e32 v36, v42, v36
	v_pk_add_f16 v38, v41, v38
	v_lshrrev_b32_e32 v41, 16, v37
	v_mul_f16_e32 v42, 0x3bf1, v20
	v_fma_f16 v43, v41, s2, v42
	v_fma_f16 v42, v41, s2, -v42
	v_add_f16_e32 v24, v42, v24
	v_mul_f16_sdwa v42, v20, s22 dst_sel:DWORD dst_unused:UNUSED_PAD src0_sel:WORD_1 src1_sel:DWORD
	v_add_f16_e32 v23, v43, v23
	v_fma_f16 v43, v37, s3, -v42
	v_add_f16_e32 v25, v43, v25
	v_mul_f16_e32 v43, 0xba95, v20
	v_fma_f16 v42, v37, s3, v42
	v_fma_f16 v44, v41, s3, v43
	v_add_f16_e32 v29, v42, v29
	v_fma_f16 v42, v41, s3, -v43
	v_mul_f16_sdwa v43, v20, s23 dst_sel:DWORD dst_unused:UNUSED_PAD src0_sel:WORD_1 src1_sel:DWORD
	v_add_f16_e32 v27, v44, v27
	v_fma_f16 v44, v37, s20, -v43
	v_add_f16_e32 v30, v44, v30
	v_mul_f16_e32 v44, 0x33a8, v20
	v_fma_f16 v43, v37, s20, v43
	v_add_f16_e32 v26, v43, v26
	v_fma_f16 v43, v41, s20, -v44
	v_add_f16_e32 v31, v43, v31
	v_mul_f16_sdwa v43, v20, s21 dst_sel:DWORD dst_unused:UNUSED_PAD src0_sel:WORD_1 src1_sel:DWORD
	v_fma_f16 v45, v41, s20, v44
	v_fma_f16 v44, v37, s1, -v43
	v_add_f16_e32 v34, v44, v34
	v_mul_f16_e32 v44, 0x3770, v20
	v_add_f16_e32 v32, v45, v32
	v_fma_f16 v45, v41, s1, v44
	v_fma_f16 v41, v41, s1, -v44
	v_add_f16_e32 v35, v41, v35
	v_pk_add_f16 v41, v3, v2
	v_pk_add_f16 v2, v2, v3 neg_lo:[0,1] neg_hi:[0,1]
	v_add_f16_sdwa v14, v0, v14 dst_sel:DWORD dst_unused:UNUSED_PAD src0_sel:WORD_1 src1_sel:DWORD
	v_fma_f16 v43, v37, s1, v43
	v_mul_f16_sdwa v3, v2, s19 dst_sel:DWORD dst_unused:UNUSED_PAD src0_sel:WORD_1 src1_sel:DWORD
	v_add_f16_e32 v14, v15, v14
	v_add_f16_e32 v33, v43, v33
	v_fma_f16 v43, v41, s20, -v3
	v_fma_f16 v3, v41, s20, v3
	s_mov_b32 s22, 0xbbc43b15
	v_add_f16_e32 v14, v39, v14
	v_add_f16_e32 v1, v3, v1
	v_pk_mul_f16 v3, v41, s22
	s_mov_b32 s22, 0x3770b3a8
	v_add_f16_e32 v14, v19, v14
	v_pk_fma_f16 v44, v2, s22, v3 op_sel:[0,0,1] op_sel_hi:[1,1,0] neg_lo:[1,0,0] neg_hi:[1,0,0]
	v_add_f16_e32 v14, v40, v14
	v_add_f16_e32 v15, v44, v14
	v_pk_fma_f16 v14, v2, s22, v3 op_sel:[0,0,1] op_sel_hi:[1,1,0]
	v_bfi_b32 v14, s0, v14, v44
	v_pk_add_f16 v14, v14, v38
	v_lshrrev_b32_e32 v19, 16, v41
	v_mul_f16_e32 v38, 0x3770, v2
	v_fma_f16 v39, v19, s1, v38
	v_fma_f16 v38, v19, s1, -v38
	v_add_f16_e32 v24, v38, v24
	v_mul_f16_sdwa v38, v2, s16 dst_sel:DWORD dst_unused:UNUSED_PAD src0_sel:WORD_1 src1_sel:DWORD
	v_add_f16_e32 v23, v39, v23
	v_fma_f16 v39, v41, s17, -v38
	v_add_f16_e32 v22, v43, v22
	v_pk_mul_f16 v43, v2, s22
	v_add_f16_e32 v25, v39, v25
	v_mul_f16_e32 v39, 0xb9fd, v19
	v_fma_f16 v38, v41, s17, v38
	s_movk_i32 s22, 0x3a95
	v_fma_f16 v44, v2, s16, v39
	v_add_f16_e32 v29, v38, v29
	v_mul_f16_sdwa v38, v2, s22 dst_sel:DWORD dst_unused:UNUSED_PAD src0_sel:WORD_1 src1_sel:DWORD
	v_add_f16_e32 v27, v44, v27
	v_fma_f16 v44, v41, s3, -v38
	v_add_f16_e32 v30, v44, v30
	v_mul_f16_e32 v44, 0x3a95, v2
	v_fma_f16 v38, v41, s3, v38
	v_add_f16_e32 v26, v38, v26
	v_fma_f16 v38, v19, s3, -v44
	v_add_f16_e32 v31, v38, v31
	v_mul_f16_sdwa v38, v2, s4 dst_sel:DWORD dst_unused:UNUSED_PAD src0_sel:WORD_1 src1_sel:DWORD
	v_add_f16_e32 v36, v45, v36
	v_fma_f16 v45, v19, s3, v44
	v_fma_f16 v44, v41, s5, -v38
	v_add_f16_e32 v34, v44, v34
	v_mul_f16_e32 v44, 0xbb7b, v2
	v_add_f16_e32 v32, v45, v32
	v_fma_f16 v45, v19, s5, v44
	v_alignbit_b32 v23, v23, v14, 16
	v_pack_b32_f16 v14, v22, v14
	v_add_f16_e32 v36, v45, v36
	s_barrier
	ds_write2_b32 v64, v14, v23 offset0:1 offset1:2
	v_pack_b32_f16 v14, v30, v32
	v_pack_b32_f16 v22, v25, v27
	ds_write2_b32 v64, v22, v14 offset0:3 offset1:4
	v_pack_b32_f16 v14, v34, v36
	v_pk_mul_f16 v5, v5, s20 op_sel_hi:[1,0]
	ds_write2_b32 v64, v6, v14 offset1:5
	v_pk_fma_f16 v6, v4, s19, v5 op_sel:[0,0,1] op_sel_hi:[1,0,0] neg_lo:[1,0,0] neg_hi:[1,0,0]
	v_pk_fma_f16 v4, v4, s19, v5 op_sel:[0,0,1] op_sel_hi:[1,0,0]
	v_pk_add_f16 v6, v0, v6 op_sel:[1,0] op_sel_hi:[0,1]
	v_pk_add_f16 v0, v0, v4 op_sel:[1,0] op_sel_hi:[0,1]
	v_pk_mul_f16 v4, v10, s1 op_sel_hi:[1,0]
	v_pk_fma_f16 v5, v9, s21, v4 op_sel:[0,0,1] op_sel_hi:[1,0,0] neg_lo:[1,0,0] neg_hi:[1,0,0]
	v_pk_fma_f16 v4, v9, s21, v4 op_sel:[0,0,1] op_sel_hi:[1,0,0]
	v_pk_add_f16 v0, v4, v0
	v_pk_mul_f16 v4, v12, s17 op_sel_hi:[1,0]
	v_pk_add_f16 v5, v5, v6
	v_pk_fma_f16 v6, v11, s16, v4 op_sel:[0,0,1] op_sel_hi:[1,0,0] neg_lo:[1,0,0] neg_hi:[1,0,0]
	v_pk_fma_f16 v4, v11, s16, v4 op_sel:[0,0,1] op_sel_hi:[1,0,0]
	v_pk_add_f16 v0, v4, v0
	v_pk_mul_f16 v4, v18, s3 op_sel_hi:[1,0]
	v_pk_add_f16 v5, v6, v5
	v_pk_fma_f16 v6, v17, s22, v4 op_sel:[0,0,1] op_sel_hi:[1,0,0] neg_lo:[1,0,0] neg_hi:[1,0,0]
	v_pk_fma_f16 v4, v17, s22, v4 op_sel:[0,0,1] op_sel_hi:[1,0,0]
	v_pk_add_f16 v0, v4, v0
	v_pk_mul_f16 v4, v37, s5 op_sel_hi:[1,0]
	v_pk_add_f16 v5, v6, v5
	v_pk_fma_f16 v6, v20, s4, v4 op_sel:[0,0,1] op_sel_hi:[1,0,0] neg_lo:[1,0,0] neg_hi:[1,0,0]
	v_pk_fma_f16 v4, v20, s4, v4 op_sel:[0,0,1] op_sel_hi:[1,0,0]
	v_pk_add_f16 v0, v4, v0
	v_pk_mul_f16 v4, v41, s2 op_sel_hi:[1,0]
	v_mul_f16_e32 v40, 0xb94e, v2
	v_pk_add_f16 v5, v6, v5
	v_pk_fma_f16 v6, v2, s18, v4 op_sel:[0,0,1] op_sel_hi:[1,0,0] neg_lo:[1,0,0] neg_hi:[1,0,0]
	v_pk_fma_f16 v2, v2, s18, v4 op_sel:[0,0,1] op_sel_hi:[1,0,0]
	v_fma_f16 v38, v41, s5, v38
	v_fma_f16 v19, v19, s5, -v44
	v_pk_add_f16 v5, v6, v5
	v_pk_add_f16 v0, v2, v0
	v_add_f16_e32 v33, v38, v33
	v_add_f16_e32 v19, v19, v35
	v_alignbit_b32 v2, v5, v0, 16
	v_alignbit_b32 v0, v0, v5, 16
	ds_write2_b32 v64, v0, v2 offset0:6 offset1:7
	v_pack_b32_f16 v0, v26, v31
	v_pack_b32_f16 v2, v33, v19
	ds_write2_b32 v64, v2, v0 offset0:8 offset1:9
	v_pack_b32_f16 v0, v42, v3
	v_bfi_b32 v2, s0, v16, v43
	v_pk_add_f16 v0, v0, v2
	v_bfi_b32 v2, s0, v40, v13
	v_pk_add_f16 v2, v39, v2 neg_lo:[0,1] neg_hi:[0,1]
	v_pk_add_f16 v3, v21, v13
	v_bfi_b32 v2, s0, v2, v3
	v_pk_add_f16 v0, v2, v0
	v_alignbit_b32 v2, v24, v0, 16
	v_pack_b32_f16 v0, v29, v0
	ds_write2_b32 v64, v0, v2 offset0:10 offset1:11
	v_pack_b32_f16 v0, v1, v15
	ds_write_b32 v64, v0 offset:48
	s_waitcnt lgkmcnt(0)
	s_barrier
	ds_read2_b32 v[5:6], v49 offset1:68
	ds_read2_b32 v[3:4], v49 offset0:136 offset1:221
	ds_read2_b32 v[21:22], v7 offset0:186 offset1:254
	;; [unrolled: 1-line block ×4, first 2 shown]
	v_add_u32_e32 v0, 0xa00, v49
	ds_read2_b32 v[11:12], v0 offset0:91 offset1:159
	v_cmp_gt_u16_e32 vcc, 17, v59
                                        ; implicit-def: $vgpr8
                                        ; implicit-def: $vgpr29
                                        ; implicit-def: $vgpr30
                                        ; implicit-def: $vgpr31
	s_and_saveexec_b64 s[0:1], vcc
	s_cbranch_execz .LBB0_3
; %bb.2:
	v_add_u32_e32 v1, 0x300, v49
	ds_read2_b32 v[7:8], v0 offset0:6 offset1:227
	ds_read2_b32 v[1:2], v1 offset0:12 offset1:233
	s_waitcnt lgkmcnt(1)
	v_lshrrev_b32_e32 v30, 16, v7
	s_waitcnt lgkmcnt(0)
	v_lshrrev_b32_e32 v15, 16, v1
	v_lshrrev_b32_e32 v31, 16, v2
	v_lshrrev_b32_e32 v29, 16, v8
.LBB0_3:
	s_or_b64 exec, exec, s[0:1]
	s_movk_i32 s2, 0x4f
	v_mul_lo_u16_sdwa v16, v59, s2 dst_sel:DWORD dst_unused:UNUSED_PAD src0_sel:BYTE_0 src1_sel:DWORD
	v_lshrrev_b16_e32 v67, 10, v16
	v_mul_lo_u16_e32 v16, 13, v67
	v_sub_u16_e32 v16, v59, v16
	v_and_b32_e32 v68, 0xff, v16
	v_mad_u64_u32 v[16:17], s[0:1], v68, 12, s[14:15]
	s_waitcnt lgkmcnt(4)
	v_lshrrev_b32_e32 v19, 16, v4
	s_waitcnt lgkmcnt(3)
	v_lshrrev_b32_e32 v20, 16, v21
	global_load_dwordx3 v[16:18], v[16:17], off
	s_waitcnt lgkmcnt(2)
	v_lshrrev_b32_e32 v23, 16, v10
	s_waitcnt lgkmcnt(1)
	v_lshrrev_b32_e32 v24, 16, v13
	v_lshrrev_b32_e32 v25, 16, v22
	s_waitcnt lgkmcnt(0)
	v_lshrrev_b32_e32 v26, 16, v11
	v_lshrrev_b32_e32 v27, 16, v14
	;; [unrolled: 1-line block ×7, first 2 shown]
	v_mov_b32_e32 v0, s13
	s_waitcnt vmcnt(0)
	v_mul_f16_sdwa v37, v19, v16 dst_sel:DWORD dst_unused:UNUSED_PAD src0_sel:DWORD src1_sel:WORD_1
	v_fma_f16 v37, v4, v16, -v37
	v_mul_f16_sdwa v4, v4, v16 dst_sel:DWORD dst_unused:UNUSED_PAD src0_sel:DWORD src1_sel:WORD_1
	v_fma_f16 v4, v19, v16, v4
	v_mul_f16_sdwa v19, v20, v17 dst_sel:DWORD dst_unused:UNUSED_PAD src0_sel:DWORD src1_sel:WORD_1
	v_fma_f16 v38, v21, v17, -v19
	v_mul_f16_sdwa v19, v21, v17 dst_sel:DWORD dst_unused:UNUSED_PAD src0_sel:DWORD src1_sel:WORD_1
	v_fma_f16 v39, v20, v17, v19
	;; [unrolled: 4-line block ×3, first 2 shown]
	v_add_u16_e32 v10, 0x44, v59
	v_mul_lo_u16_sdwa v19, v10, s2 dst_sel:DWORD dst_unused:UNUSED_PAD src0_sel:BYTE_0 src1_sel:DWORD
	v_lshrrev_b16_e32 v69, 10, v19
	v_mul_lo_u16_e32 v19, 13, v69
	v_sub_u16_e32 v10, v10, v19
	v_and_b32_e32 v74, 0xff, v10
	v_mad_u64_u32 v[19:20], s[0:1], v74, 12, s[14:15]
	global_load_dwordx3 v[19:21], v[19:20], off
	s_waitcnt vmcnt(0)
	v_mul_f16_sdwa v10, v24, v19 dst_sel:DWORD dst_unused:UNUSED_PAD src0_sel:DWORD src1_sel:WORD_1
	v_fma_f16 v42, v13, v19, -v10
	v_mul_f16_sdwa v10, v13, v19 dst_sel:DWORD dst_unused:UNUSED_PAD src0_sel:DWORD src1_sel:WORD_1
	v_fma_f16 v13, v24, v19, v10
	v_mul_f16_sdwa v10, v25, v20 dst_sel:DWORD dst_unused:UNUSED_PAD src0_sel:DWORD src1_sel:WORD_1
	v_fma_f16 v43, v22, v20, -v10
	v_mul_f16_sdwa v10, v22, v20 dst_sel:DWORD dst_unused:UNUSED_PAD src0_sel:DWORD src1_sel:WORD_1
	v_fma_f16 v44, v25, v20, v10
	;; [unrolled: 4-line block ×3, first 2 shown]
	v_add_u16_e32 v10, 0x88, v59
	v_mul_lo_u16_sdwa v11, v10, s2 dst_sel:DWORD dst_unused:UNUSED_PAD src0_sel:BYTE_0 src1_sel:DWORD
	v_lshrrev_b16_e32 v75, 10, v11
	v_mul_lo_u16_e32 v11, 13, v75
	v_sub_u16_e32 v10, v10, v11
	v_and_b32_e32 v78, 0xff, v10
	v_mad_u64_u32 v[10:11], s[0:1], v78, 12, s[14:15]
	global_load_dwordx3 v[22:24], v[10:11], off
	s_waitcnt vmcnt(0)
	v_mul_f16_sdwa v10, v27, v22 dst_sel:DWORD dst_unused:UNUSED_PAD src0_sel:DWORD src1_sel:WORD_1
	v_fma_f16 v11, v14, v22, -v10
	v_mul_f16_sdwa v10, v14, v22 dst_sel:DWORD dst_unused:UNUSED_PAD src0_sel:DWORD src1_sel:WORD_1
	v_fma_f16 v14, v27, v22, v10
	v_mul_f16_sdwa v10, v35, v23 dst_sel:DWORD dst_unused:UNUSED_PAD src0_sel:DWORD src1_sel:WORD_1
	v_fma_f16 v79, v9, v23, -v10
	v_mul_f16_sdwa v9, v9, v23 dst_sel:DWORD dst_unused:UNUSED_PAD src0_sel:DWORD src1_sel:WORD_1
	v_fma_f16 v82, v35, v23, v9
	;; [unrolled: 4-line block ×3, first 2 shown]
	v_add_u16_e32 v9, 0xcc, v59
	v_mul_u32_u24_e32 v10, 0x4ec5, v9
	v_lshrrev_b32_e32 v172, 18, v10
	v_mul_lo_u16_e32 v10, 13, v172
	v_sub_u16_e32 v173, v9, v10
	v_mul_lo_u16_e32 v9, 12, v173
	v_add_co_u32_e64 v9, s[0:1], s14, v9
	v_mov_b32_e32 v10, s15
	v_addc_co_u32_e64 v10, s[0:1], 0, v10, s[0:1]
	global_load_dwordx3 v[25:27], v[9:10], off
	v_sub_f16_e32 v36, v32, v39
	v_sub_f16_e32 v35, v5, v38
	;; [unrolled: 1-line block ×3, first 2 shown]
	v_fma_f16 v5, v5, 2.0, -v35
	v_fma_f16 v4, v4, 2.0, -v38
	v_sub_f16_e32 v12, v14, v12
	v_fma_f16 v14, v14, 2.0, -v12
	s_waitcnt vmcnt(0)
	s_barrier
	v_mul_f16_sdwa v10, v30, v26 dst_sel:DWORD dst_unused:UNUSED_PAD src0_sel:DWORD src1_sel:WORD_1
	v_fma_f16 v10, v7, v26, -v10
	v_mul_f16_sdwa v7, v7, v26 dst_sel:DWORD dst_unused:UNUSED_PAD src0_sel:DWORD src1_sel:WORD_1
	v_fma_f16 v7, v30, v26, v7
	v_mul_f16_sdwa v30, v29, v27 dst_sel:DWORD dst_unused:UNUSED_PAD src0_sel:DWORD src1_sel:WORD_1
	v_fma_f16 v84, v8, v27, -v30
	v_mul_f16_sdwa v8, v8, v27 dst_sel:DWORD dst_unused:UNUSED_PAD src0_sel:DWORD src1_sel:WORD_1
	v_fma_f16 v30, v32, 2.0, -v36
	v_sub_f16_e32 v32, v37, v40
	v_mul_f16_sdwa v9, v31, v25 dst_sel:DWORD dst_unused:UNUSED_PAD src0_sel:DWORD src1_sel:WORD_1
	v_fma_f16 v8, v29, v27, v8
	v_fma_f16 v29, v37, 2.0, -v32
	v_fma_f16 v9, v2, v25, -v9
	v_mul_f16_sdwa v2, v2, v25 dst_sel:DWORD dst_unused:UNUSED_PAD src0_sel:DWORD src1_sel:WORD_1
	v_sub_f16_e32 v29, v5, v29
	v_sub_f16_e32 v71, v30, v4
	v_add_f16_e32 v72, v36, v32
	v_fma_f16 v2, v31, v25, v2
	v_fma_f16 v31, v5, 2.0, -v29
	v_fma_f16 v70, v30, 2.0, -v71
	v_sub_f16_e32 v30, v35, v38
	v_fma_f16 v73, v36, 2.0, -v72
	v_sub_f16_e32 v4, v6, v43
	v_sub_f16_e32 v5, v33, v44
	;; [unrolled: 1-line block ×4, first 2 shown]
	v_fma_f16 v32, v35, 2.0, -v30
	v_fma_f16 v6, v6, 2.0, -v4
	;; [unrolled: 1-line block ×5, first 2 shown]
	v_sub_f16_e32 v38, v4, v38
	v_add_f16_e32 v81, v5, v36
	v_sub_f16_e32 v37, v6, v35
	v_sub_f16_e32 v80, v33, v13
	v_fma_f16 v36, v4, 2.0, -v38
	v_fma_f16 v77, v5, 2.0, -v81
	v_sub_f16_e32 v4, v3, v79
	v_sub_f16_e32 v5, v34, v82
	;; [unrolled: 1-line block ×3, first 2 shown]
	v_fma_f16 v35, v6, 2.0, -v37
	v_fma_f16 v3, v3, 2.0, -v4
	;; [unrolled: 1-line block ×4, first 2 shown]
	v_sub_f16_e32 v41, v3, v11
	v_sub_f16_e32 v90, v6, v14
	v_fma_f16 v39, v3, 2.0, -v41
	v_fma_f16 v88, v6, 2.0, -v90
	v_sub_f16_e32 v42, v4, v12
	v_sub_f16_e32 v3, v1, v10
	v_sub_f16_e32 v6, v9, v84
	v_fma_f16 v40, v4, 2.0, -v42
	v_sub_f16_e32 v4, v15, v7
	v_fma_f16 v1, v1, 2.0, -v3
	v_sub_f16_e32 v7, v2, v8
	v_fma_f16 v8, v9, 2.0, -v6
	v_sub_f16_e32 v45, v1, v8
	v_add_f16_e32 v91, v5, v13
	v_fma_f16 v43, v1, 2.0, -v45
	v_mul_u32_u24_e32 v1, 52, v67
	v_fma_f16 v89, v5, 2.0, -v91
	v_fma_f16 v5, v15, 2.0, -v4
	;; [unrolled: 1-line block ×3, first 2 shown]
	v_add_u32_e32 v1, v1, v68
	v_sub_f16_e32 v94, v5, v2
	v_lshl_add_u32 v202, v1, 2, v171
	v_pack_b32_f16 v1, v31, v70
	v_pack_b32_f16 v2, v32, v73
	ds_write2_b32 v202, v1, v2 offset1:13
	v_pack_b32_f16 v1, v29, v71
	v_pack_b32_f16 v2, v30, v72
	ds_write2_b32 v202, v1, v2 offset0:26 offset1:39
	v_mul_u32_u24_e32 v1, 52, v69
	v_fma_f16 v76, v33, 2.0, -v80
	v_add_u32_e32 v1, v1, v74
	v_lshl_add_u32 v222, v1, 2, v171
	v_pack_b32_f16 v1, v35, v76
	v_pack_b32_f16 v2, v36, v77
	ds_write2_b32 v222, v1, v2 offset1:13
	v_pack_b32_f16 v1, v37, v80
	v_pack_b32_f16 v2, v38, v81
	ds_write2_b32 v222, v1, v2 offset0:26 offset1:39
	v_mul_u32_u24_e32 v1, 52, v75
	v_add_u32_e32 v1, v1, v78
	v_sub_f16_e32 v46, v3, v7
	v_add_f16_e32 v95, v4, v6
	v_lshl_add_u32 v209, v1, 2, v171
	v_pack_b32_f16 v1, v39, v88
	v_pack_b32_f16 v2, v40, v89
	v_fma_f16 v92, v5, 2.0, -v94
	v_fma_f16 v44, v3, 2.0, -v46
	v_fma_f16 v93, v4, 2.0, -v95
	ds_write2_b32 v209, v1, v2 offset1:13
	v_pack_b32_f16 v1, v41, v90
	v_pack_b32_f16 v2, v42, v91
	ds_write2_b32 v209, v1, v2 offset0:26 offset1:39
	s_and_saveexec_b64 s[0:1], vcc
	s_cbranch_execz .LBB0_5
; %bb.4:
	v_mad_legacy_u16 v1, v172, 52, v173
	s_mov_b32 s2, 0x5040100
	v_lshl_add_u32 v1, v1, 2, v171
	v_perm_b32 v2, v92, v43, s2
	v_perm_b32 v3, v93, v44, s2
	ds_write2_b32 v1, v2, v3 offset1:13
	v_perm_b32 v2, v94, v45, s2
	v_perm_b32 v3, v95, v46, s2
	ds_write2_b32 v1, v2, v3 offset0:26 offset1:39
.LBB0_5:
	s_or_b64 exec, exec, s[0:1]
	v_add_co_u32_e64 v33, s[0:1], s12, v63
	v_addc_co_u32_e64 v34, s[0:1], 0, v0, s[0:1]
	v_cmp_gt_u16_e64 s[0:1], 52, v59
	s_waitcnt lgkmcnt(0)
	s_barrier
	s_waitcnt lgkmcnt(0)
                                        ; implicit-def: $vgpr96
                                        ; implicit-def: $vgpr97
	s_and_saveexec_b64 s[2:3], s[0:1]
	s_cbranch_execz .LBB0_7
; %bb.6:
	v_add_u32_e32 v0, 0x200, v49
	ds_read2_b32 v[31:32], v49 offset1:52
	ds_read2_b32 v[29:30], v49 offset0:104 offset1:156
	ds_read2_b32 v[35:36], v0 offset0:80 offset1:132
	v_add_u32_e32 v0, 0x400, v49
	ds_read2_b32 v[37:38], v0 offset0:56 offset1:108
	ds_read2_b32 v[39:40], v0 offset0:160 offset1:212
	v_add_u32_e32 v0, 0x800, v49
	;; [unrolled: 3-line block ×3, first 2 shown]
	ds_read2_b32 v[45:46], v0 offset0:88 offset1:140
	ds_read_b32 v96, v49 offset:3328
	s_waitcnt lgkmcnt(8)
	v_lshrrev_b32_e32 v70, 16, v31
	v_lshrrev_b32_e32 v73, 16, v32
	s_waitcnt lgkmcnt(7)
	v_lshrrev_b32_e32 v71, 16, v29
	v_lshrrev_b32_e32 v72, 16, v30
	;; [unrolled: 3-line block ×8, first 2 shown]
	s_waitcnt lgkmcnt(0)
	v_lshrrev_b32_e32 v97, 16, v96
.LBB0_7:
	s_or_b64 exec, exec, s[2:3]
	v_lshlrev_b32_e32 v0, 4, v59
	s_movk_i32 s2, 0xfcc0
	v_add_co_u32_e64 v2, s[2:3], s2, v0
	v_addc_co_u32_e64 v1, s[2:3], 0, -1, s[2:3]
	v_cndmask_b32_e64 v1, v1, 0, s[0:1]
	v_cndmask_b32_e64 v0, v2, v0, s[0:1]
	v_lshlrev_b64 v[0:1], 2, v[0:1]
	v_mov_b32_e32 v2, s15
	v_add_co_u32_e64 v74, s[2:3], s14, v0
	v_addc_co_u32_e64 v75, s[2:3], v2, v1, s[2:3]
	global_load_dwordx4 v[8:11], v[74:75], off offset:156
	global_load_dwordx4 v[0:3], v[74:75], off offset:172
	;; [unrolled: 1-line block ×4, first 2 shown]
	s_movk_i32 s14, 0x3722
	s_movk_i32 s15, 0x2de8
	s_mov_b32 s16, 0xb8d2
	s_mov_b32 s17, 0xbbdd
	;; [unrolled: 1-line block ×3, first 2 shown]
	s_movk_i32 s4, 0x3b76
	s_movk_i32 s5, 0x39e9
	s_mov_b32 s19, 0xbacd
	s_mov_b32 s20, 0xb5c8
	;; [unrolled: 1-line block ×7, first 2 shown]
	s_movk_i32 s36, 0x31e1
	s_movk_i32 s29, 0x3bb2
	s_movk_i32 s35, 0x35c8
	s_mov_b32 s26, 0xbbb2
	s_movk_i32 s25, 0x3836
	s_movk_i32 s24, 0x3964
	s_mov_b32 s30, 0xb836
	s_movk_i32 s28, 0x3b29
	s_movk_i32 s33, 0x3a62
	s_waitcnt vmcnt(3)
	v_mul_f16_sdwa v75, v73, v8 dst_sel:DWORD dst_unused:UNUSED_PAD src0_sel:DWORD src1_sel:WORD_1
	v_mul_f16_sdwa v74, v32, v8 dst_sel:DWORD dst_unused:UNUSED_PAD src0_sel:DWORD src1_sel:WORD_1
	;; [unrolled: 1-line block ×5, first 2 shown]
	s_waitcnt vmcnt(2)
	v_mul_f16_sdwa v101, v81, v2 dst_sel:DWORD dst_unused:UNUSED_PAD src0_sel:DWORD src1_sel:WORD_1
	v_mul_f16_sdwa v102, v38, v2 dst_sel:DWORD dst_unused:UNUSED_PAD src0_sel:DWORD src1_sel:WORD_1
	s_waitcnt vmcnt(0)
	v_mul_f16_sdwa v120, v96, v15 dst_sel:DWORD dst_unused:UNUSED_PAD src0_sel:DWORD src1_sel:WORD_1
	v_mul_f16_sdwa v99, v80, v1 dst_sel:DWORD dst_unused:UNUSED_PAD src0_sel:DWORD src1_sel:WORD_1
	;; [unrolled: 1-line block ×5, first 2 shown]
	v_fma_f16 v74, v73, v8, v74
	v_fma_f16 v82, v32, v8, -v75
	v_fma_f16 v32, v71, v9, v83
	v_fma_f16 v83, v35, v11, -v85
	;; [unrolled: 2-line block ×3, first 2 shown]
	v_fma_f16 v38, v81, v2, v102
	v_fma_f16 v81, v97, v15, v120
	v_mul_f16_sdwa v78, v71, v9 dst_sel:DWORD dst_unused:UNUSED_PAD src0_sel:DWORD src1_sel:WORD_1
	v_mul_f16_sdwa v84, v30, v10 dst_sel:DWORD dst_unused:UNUSED_PAD src0_sel:DWORD src1_sel:WORD_1
	;; [unrolled: 1-line block ×6, first 2 shown]
	v_fma_f16 v85, v37, v1, -v99
	v_fma_f16 v37, v80, v1, v100
	v_fma_f16 v80, v95, v14, v118
	v_fma_f16 v95, v96, v15, -v119
	v_sub_f16_e32 v132, v74, v81
	v_mul_f16_sdwa v115, v94, v13 dst_sel:DWORD dst_unused:UNUSED_PAD src0_sel:DWORD src1_sel:WORD_1
	v_fma_f16 v78, v29, v9, -v78
	v_fma_f16 v75, v72, v10, v84
	v_fma_f16 v84, v36, v0, -v87
	v_fma_f16 v36, v77, v0, v98
	v_fma_f16 v77, v94, v13, v116
	v_fma_f16 v94, v46, v14, -v117
	v_add_f16_e32 v100, v82, v95
	v_mul_f16_e32 v230, 0xbb29, v132
	v_sub_f16_e32 v135, v32, v80
	v_mul_f16_sdwa v79, v72, v10 dst_sel:DWORD dst_unused:UNUSED_PAD src0_sel:DWORD src1_sel:WORD_1
	v_mul_f16_sdwa v103, v88, v3 dst_sel:DWORD dst_unused:UNUSED_PAD src0_sel:DWORD src1_sel:WORD_1
	;; [unrolled: 1-line block ×13, first 2 shown]
	v_mul_f16_e32 v98, 0xbbf7, v132
	v_fma_f16 v29, v100, s14, v230
	v_add_f16_e32 v102, v78, v94
	v_mul_f16_e32 v97, 0xba62, v135
	v_fma_f16 v79, v30, v10, -v79
	v_fma_f16 v87, v39, v3, -v103
	v_fma_f16 v39, v88, v3, v104
	v_fma_f16 v88, v40, v4, -v105
	v_fma_f16 v40, v89, v4, v106
	;; [unrolled: 2-line block ×7, first 2 shown]
	v_add_f16_e32 v29, v31, v29
	v_fma_f16 v44, v102, s16, v97
	v_mul_f16_e32 v101, 0xb1e1, v135
	v_sub_f16_e32 v146, v75, v77
	v_add_f16_e32 v30, v31, v30
	v_add_f16_e32 v29, v44, v29
	v_fma_f16 v44, v102, s17, v101
	v_add_f16_e32 v105, v79, v93
	v_mul_f16_e32 v99, 0x31e1, v146
	v_add_f16_e32 v30, v44, v30
	v_fma_f16 v44, v105, s17, v99
	v_mul_f16_e32 v104, 0x3bb2, v146
	v_sub_f16_e32 v153, v35, v76
	v_add_f16_e32 v29, v44, v29
	v_fma_f16 v44, v105, s18, v104
	v_add_f16_e32 v108, v83, v92
	v_mul_f16_e32 v103, 0x3bb2, v153
	v_add_f16_e32 v30, v44, v30
	v_fma_f16 v44, v108, s18, v103
	v_mul_f16_e32 v107, 0x35c8, v153
	v_sub_f16_e32 v165, v36, v43
	v_add_f16_e32 v29, v44, v29
	v_fma_f16 v44, v108, s4, v107
	v_add_f16_e32 v113, v84, v91
	v_mul_f16_e32 v106, 0x3964, v165
	v_add_f16_e32 v30, v44, v30
	v_fma_f16 v44, v113, s5, v106
	v_mul_f16_e32 v110, 0xbb29, v165
	v_sub_f16_e32 v177, v37, v42
	v_add_f16_e32 v29, v44, v29
	v_fma_f16 v44, v113, s14, v110
	v_add_f16_e32 v118, v85, v90
	v_mul_f16_e32 v109, 0xb5c8, v177
	v_add_f16_e32 v30, v44, v30
	v_fma_f16 v44, v118, s4, v109
	v_mul_f16_e32 v116, 0xb836, v177
	v_sub_f16_e32 v183, v38, v41
	v_add_f16_e32 v29, v44, v29
	v_fma_f16 v44, v118, s19, v116
	v_add_f16_e32 v126, v86, v89
	v_mul_f16_e32 v114, 0xbbf7, v183
	v_add_f16_e32 v30, v44, v30
	v_fma_f16 v44, v126, s15, v114
	v_mul_f16_e32 v123, 0x3a62, v183
	v_sub_f16_e32 v186, v39, v40
	v_add_f16_e32 v29, v44, v29
	v_fma_f16 v44, v126, s16, v123
	v_add_f16_e32 v134, v87, v88
	v_mul_f16_e32 v120, 0xb836, v186
	v_add_f16_e32 v44, v44, v30
	v_fma_f16 v30, v134, s19, v120
	v_mul_f16_e32 v133, 0x3964, v186
	v_add_f16_e32 v30, v30, v29
	v_fma_f16 v29, v134, s5, v133
	;; [unrolled: 3-line block ×3, first 2 shown]
	v_mul_f16_e32 v112, 0xb964, v135
	v_sub_f16_e32 v159, v82, v95
	v_add_f16_e32 v44, v31, v44
	v_fma_f16 v45, v102, s5, v112
	v_add_f16_e32 v190, v74, v81
	v_mul_f16_e32 v115, 0xb5c8, v159
	v_sub_f16_e32 v160, v78, v94
	v_add_f16_e32 v44, v45, v44
	v_fma_f16 v45, v190, s4, -v115
	v_add_f16_e32 v191, v32, v80
	v_mul_f16_e32 v117, 0xb964, v160
	v_add_f16_e32 v45, v70, v45
	v_fma_f16 v46, v191, s5, -v117
	v_mul_f16_e32 v121, 0xb964, v132
	v_add_f16_e32 v45, v46, v45
	v_fma_f16 v46, v100, s5, v121
	v_mul_f16_e32 v122, 0xbbf7, v135
	v_add_f16_e32 v46, v31, v46
	v_fma_f16 v71, v102, s15, v122
	v_mul_f16_e32 v127, 0xb964, v159
	v_add_f16_e32 v46, v71, v46
	v_fma_f16 v71, v190, s5, -v127
	v_mul_f16_e32 v128, 0xbbf7, v160
	v_add_f16_e32 v71, v70, v71
	v_fma_f16 v72, v191, s15, -v128
	;; [unrolled: 3-line block ×6, first 2 shown]
	v_add_f16_e32 v73, v119, v73
	v_mul_f16_e32 v119, 0xbb29, v146
	v_sub_f16_e32 v168, v79, v93
	v_fma_f16 v124, v105, s14, v119
	v_add_f16_e32 v194, v75, v77
	v_mul_f16_e32 v125, 0xbb29, v168
	v_add_f16_e32 v44, v124, v44
	v_fma_f16 v124, v194, s14, -v125
	v_mul_f16_e32 v131, 0xba62, v146
	v_add_f16_e32 v45, v124, v45
	v_fma_f16 v124, v105, s16, v131
	v_mul_f16_e32 v139, 0xba62, v168
	v_add_f16_e32 v46, v124, v46
	v_fma_f16 v124, v194, s16, -v139
	v_mul_f16_e32 v149, 0x31e1, v168
	v_add_f16_e32 v71, v124, v71
	v_fma_f16 v124, v194, s17, -v149
	v_mul_f16_e32 v161, 0x3bb2, v168
	v_add_f16_e32 v72, v124, v72
	v_fma_f16 v124, v194, s18, -v161
	v_add_f16_e32 v73, v124, v73
	v_mul_f16_e32 v124, 0xbbf7, v153
	v_sub_f16_e32 v178, v83, v92
	v_fma_f16 v129, v108, s15, v124
	v_add_f16_e32 v196, v35, v76
	v_mul_f16_e32 v130, 0xbbf7, v178
	v_add_f16_e32 v44, v129, v44
	v_fma_f16 v129, v196, s15, -v130
	v_mul_f16_e32 v138, 0xb1e1, v153
	v_add_f16_e32 v45, v129, v45
	v_fma_f16 v129, v108, s17, v138
	v_mul_f16_e32 v145, 0xb1e1, v178
	v_add_f16_e32 v46, v129, v46
	v_fma_f16 v129, v196, s17, -v145
	v_mul_f16_e32 v156, 0x3bb2, v178
	v_add_f16_e32 v71, v129, v71
	v_fma_f16 v129, v196, s18, -v156
	v_mul_f16_e32 v167, 0x35c8, v178
	v_add_f16_e32 v72, v129, v72
	v_fma_f16 v129, v196, s4, -v167
	;; [unrolled: 20-line block ×5, first 2 shown]
	v_add_f16_e32 v73, v147, v73
	v_mul_f16_e32 v147, 0xb1e1, v186
	v_fma_f16 v155, v134, s17, v147
	v_sub_f16_e32 v189, v87, v88
	v_add_f16_e32 v44, v155, v44
	v_add_f16_e32 v192, v39, v40
	v_mul_f16_e32 v155, 0xb1e1, v189
	v_fma_f16 v163, v192, s17, -v155
	v_add_f16_e32 v45, v163, v45
	v_mul_f16_e32 v163, 0x35c8, v186
	v_fma_f16 v166, v134, s4, v163
	v_mul_f16_e32 v170, 0x35c8, v189
	v_add_f16_e32 v46, v166, v46
	v_fma_f16 v166, v192, s4, -v170
	v_mul_f16_e32 v182, 0xb836, v189
	v_add_f16_e32 v71, v166, v71
	v_fma_f16 v166, v192, s19, -v182
	;; [unrolled: 3-line block ×3, first 2 shown]
	v_add_f16_e32 v73, v166, v73
	s_and_saveexec_b64 s[2:3], s[0:1]
	s_cbranch_execz .LBB0_9
; %bb.8:
	v_mul_f16_e32 v62, 0x3b76, v100
	buffer_store_dword v62, off, s[40:43], 0 ; 4-byte Folded Spill
	v_mul_f16_e32 v62, 0x3b76, v190
	buffer_store_dword v62, off, s[40:43], 0 offset:12 ; 4-byte Folded Spill
	v_mul_f16_e32 v62, 0x39e9, v100
	buffer_store_dword v62, off, s[40:43], 0 offset:40 ; 4-byte Folded Spill
	;; [unrolled: 2-line block ×19, first 2 shown]
	v_mul_f16_e32 v62, 0x2de8, v108
	v_mul_f16_e32 v236, 0xb461, v190
	buffer_store_dword v62, off, s[40:43], 0 offset:16 ; 4-byte Folded Spill
	v_mul_f16_e32 v62, 0x2de8, v196
	v_fma_f16 v175, v159, s29, v236
	v_mul_f16_e32 v237, 0xbacd, v191
	buffer_store_dword v62, off, s[40:43], 0 offset:44 ; 4-byte Folded Spill
	v_mul_f16_e32 v62, 0xbbdd, v108
	v_add_f16_e32 v175, v70, v175
	v_fma_f16 v238, v160, s30, v237
	buffer_store_dword v62, off, s[40:43], 0 offset:72 ; 4-byte Folded Spill
	v_mul_f16_e32 v62, 0xbbdd, v196
	v_add_f16_e32 v175, v238, v175
	v_mul_f16_e32 v238, 0x39e9, v194
	buffer_store_dword v62, off, s[40:43], 0 offset:100 ; 4-byte Folded Spill
	v_mul_f16_e32 v62, 0xb461, v108
	v_fma_f16 v239, v168, s27, v238
	buffer_store_dword v62, off, s[40:43], 0 offset:120 ; 4-byte Folded Spill
	v_mul_f16_e32 v62, 0xb461, v196
	v_add_f16_e32 v175, v239, v175
	v_mul_f16_e32 v239, 0x3722, v196
	buffer_store_dword v62, off, s[40:43], 0 offset:144 ; 4-byte Folded Spill
	v_mul_f16_e32 v62, 0xb461, v113
	;; [unrolled: 7-line block ×6, first 2 shown]
	v_fma_f16 v244, v189, s33, v243
	buffer_store_dword v62, off, s[40:43], 0 offset:88 ; 4-byte Folded Spill
	v_add_f16_e32 v62, v244, v175
	v_mul_f16_e32 v244, 0xbbb2, v132
	v_fma_f16 v245, v100, s18, v244
	v_mul_f16_e32 v246, 0x3836, v135
	v_add_f16_e32 v245, v31, v245
	v_fma_f16 v247, v102, s19, v246
	v_add_f16_e32 v245, v247, v245
	v_mul_f16_e32 v247, 0x3964, v146
	v_fma_f16 v248, v105, s5, v247
	v_add_f16_e32 v245, v248, v245
	v_mul_f16_e32 v248, 0xbb29, v153
	;; [unrolled: 3-line block ×6, first 2 shown]
	v_fma_f16 v253, v134, s16, v252
	buffer_store_dword v62, off, s[40:43], 0 offset:20 ; 4-byte Folded Spill
	v_add_f16_e32 v62, v253, v245
	v_mul_f16_e32 v253, 0xb8d2, v190
	v_fma_f16 v254, v159, s33, v253
	v_mul_f16_e32 v255, 0xb461, v191
	v_add_f16_e32 v254, v70, v254
	v_fma_f16 v65, v160, s26, v255
	v_add_f16_e32 v65, v65, v254
	v_mul_f16_e32 v254, 0x3b76, v194
	v_fma_f16 v66, v168, s35, v254
	v_add_f16_e32 v65, v66, v65
	v_mul_f16_e32 v66, 0xbacd, v196
	;; [unrolled: 3-line block ×3, first 2 shown]
	v_mov_b32_e32 v68, v171
	v_fma_f16 v171, v181, s31, v166
	v_add_f16_e32 v65, v171, v65
	v_mul_f16_e32 v171, 0x39e9, v195
	v_mov_b32_e32 v69, v172
	v_fma_f16 v172, v185, s24, v171
	v_add_f16_e32 v65, v172, v65
	v_mul_f16_e32 v172, 0xbbdd, v193
	;; [unrolled: 4-line block ×3, first 2 shown]
	v_fma_f16 v174, v189, s22, v173
	buffer_store_dword v62, off, s[40:43], 0 offset:56 ; 4-byte Folded Spill
	v_add_f16_e32 v62, v174, v65
	v_mul_f16_e32 v174, 0xba62, v132
	buffer_store_dword v62, off, s[40:43], 0 offset:96 ; 4-byte Folded Spill
	v_fma_f16 v175, v100, s16, v174
	v_mul_f16_e32 v62, 0x3bb2, v135
	v_add_f16_e32 v175, v31, v175
	v_fma_f16 v225, v102, s18, v62
	v_add_f16_e32 v175, v225, v175
	v_mul_f16_e32 v225, 0xb5c8, v146
	v_fma_f16 v211, v105, s4, v225
	v_add_f16_e32 v175, v211, v175
	v_mul_f16_e32 v211, 0xb836, v153
	;; [unrolled: 3-line block ×7, first 2 shown]
	v_fma_f16 v245, v159, s25, v226
	v_mul_f16_e32 v204, 0x3722, v191
	v_add_f16_e32 v245, v70, v245
	v_fma_f16 v234, v160, s22, v204
	s_movk_i32 s34, 0x3bf7
	v_add_f16_e32 v234, v234, v245
	v_mul_f16_e32 v245, 0x2de8, v194
	v_fma_f16 v199, v168, s34, v245
	v_add_f16_e32 v199, v199, v234
	v_mul_f16_e32 v234, 0xb8d2, v196
	v_fma_f16 v219, v178, s21, v234
	;; [unrolled: 3-line block ×6, first 2 shown]
	v_fma_f16 v226, v159, s30, v226
	v_add_f16_e32 v199, v235, v199
	v_mul_f16_e32 v235, 0xb836, v132
	v_add_f16_e32 v226, v70, v226
	v_fma_f16 v204, v160, s28, v204
	buffer_store_dword v65, off, s[40:43], 0 offset:132 ; 4-byte Folded Spill
	v_fma_f16 v65, v100, s19, v235
	v_mul_f16_e32 v212, 0x3b29, v135
	v_add_f16_e32 v204, v204, v226
	v_fma_f16 v245, v168, s31, v245
	v_add_f16_e32 v65, v31, v65
	v_fma_f16 v220, v102, s14, v212
	v_add_f16_e32 v204, v245, v204
	v_fma_f16 v234, v178, s33, v234
	v_add_f16_e32 v65, v220, v65
	v_mul_f16_e32 v220, 0xbbf7, v146
	v_add_f16_e32 v204, v234, v204
	v_fma_f16 v219, v181, s20, v219
	v_fma_f16 v207, v105, s15, v220
	v_add_f16_e32 v204, v219, v204
	v_fma_f16 v206, v185, s23, v206
	v_add_f16_e32 v65, v207, v65
	v_mul_f16_e32 v207, 0x3a62, v153
	v_add_f16_e32 v204, v206, v204
	v_fma_f16 v206, v188, s24, v227
	v_fma_f16 v228, v108, s16, v207
	v_add_f16_e32 v204, v206, v204
	v_fma_f16 v206, v189, s26, v213
	v_add_f16_e32 v65, v228, v65
	v_mul_f16_e32 v228, 0xb5c8, v165
	v_add_f16_e32 v204, v206, v204
	v_fma_f16 v206, v100, s19, -v235
	v_fma_f16 v214, v113, s4, v228
	v_add_f16_e32 v206, v31, v206
	v_fma_f16 v212, v102, s14, -v212
	v_add_f16_e32 v65, v214, v65
	v_mul_f16_e32 v214, 0xb1e1, v177
	v_add_f16_e32 v206, v212, v206
	v_fma_f16 v212, v105, s15, -v220
	v_fma_f16 v200, v118, s17, v214
	v_add_f16_e32 v206, v212, v206
	v_fma_f16 v207, v108, s16, -v207
	;; [unrolled: 7-line block ×4, first 2 shown]
	v_add_f16_e32 v200, v201, v200
	v_fma_f16 v201, v159, s21, v253
	v_add_f16_e32 v201, v70, v201
	v_fma_f16 v206, v160, s29, v255
	;; [unrolled: 2-line block ×8, first 2 shown]
	v_mov_b32_e32 v173, v96
	buffer_load_dword v96, off, s[40:43], 0 offset:140 ; 4-byte Folded Reload
	v_mul_f16_e32 v203, 0x2de8, v190
	v_mul_f16_e32 v190, 0xbbdd, v190
	;; [unrolled: 1-line block ×3, first 2 shown]
	v_add_f16_e32 v65, v221, v65
	v_fma_f16 v221, v159, s36, v190
	v_mul_f16_e32 v191, 0x3b76, v191
	v_mul_f16_e32 v217, 0xb461, v194
	v_add_f16_e32 v221, v70, v221
	v_fma_f16 v208, v160, s20, v191
	v_mul_f16_e32 v194, 0xbacd, v194
	v_mul_f16_e32 v224, 0x3b76, v196
	;; [unrolled: 4-line block ×3, first 2 shown]
	v_add_f16_e32 v208, v221, v208
	v_fma_f16 v221, v178, s27, v196
	v_mul_f16_e32 v197, 0xb8d2, v197
	v_add_f16_e32 v208, v221, v208
	v_fma_f16 v221, v181, s33, v197
	v_add_f16_e32 v208, v221, v208
	v_mul_f16_e32 v221, 0x3722, v195
	v_fma_f16 v175, v185, s22, v221
	v_add_f16_e32 v175, v175, v208
	v_mul_f16_e32 v208, 0xb461, v193
	;; [unrolled: 3-line block ×3, first 2 shown]
	v_fma_f16 v215, v189, s31, v229
	v_mul_f16_e32 v132, 0xb1e1, v132
	v_fma_f16 v190, v159, s23, v190
	v_mul_f16_e32 v216, 0xb461, v105
	v_add_f16_e32 v175, v215, v175
	v_fma_f16 v215, v100, s17, v132
	v_mul_f16_e32 v135, 0x35c8, v135
	v_add_f16_e32 v190, v70, v190
	v_fma_f16 v191, v160, s35, v191
	v_fma_f16 v132, v100, s17, -v132
	v_mul_f16_e32 v223, 0x3b76, v108
	v_add_f16_e32 v215, v31, v215
	v_fma_f16 v67, v102, s4, v135
	v_mul_f16_e32 v146, 0xb836, v146
	v_add_f16_e32 v190, v191, v190
	v_fma_f16 v194, v168, s30, v194
	v_add_f16_e32 v132, v31, v132
	v_fma_f16 v135, v102, s4, -v135
	v_mul_f16_e32 v231, 0x3722, v113
	v_add_f16_e32 v67, v67, v215
	v_fma_f16 v215, v105, s19, v146
	v_mul_f16_e32 v153, 0x3964, v153
	v_add_f16_e32 v190, v194, v190
	v_fma_f16 v196, v178, s24, v196
	v_add_f16_e32 v132, v135, v132
	v_fma_f16 v146, v105, s19, -v146
	v_add_f16_e32 v67, v215, v67
	v_fma_f16 v215, v108, s5, v153
	v_add_f16_e32 v190, v196, v190
	v_mul_f16_e32 v196, 0xbacd, v118
	v_add_f16_e32 v132, v146, v132
	v_fma_f16 v153, v108, s5, -v153
	v_add_f16_e32 v132, v153, v132
	v_mul_f16_e32 v153, 0xb8d2, v126
	v_mul_f16_e32 v234, 0x39e9, v134
	;; [unrolled: 1-line block ×9, first 2 shown]
	v_add_f16_e32 v67, v215, v67
	v_fma_f16 v215, v113, s16, v165
	v_mul_f16_e32 v177, 0x3b29, v177
	v_add_f16_e32 v67, v215, v67
	v_fma_f16 v215, v118, s14, v177
	v_mul_f16_e32 v183, 0xbbb2, v183
	v_fma_f16 v197, v181, s21, v197
	v_add_f16_e32 v67, v215, v67
	v_fma_f16 v215, v126, s18, v183
	s_waitcnt vmcnt(0)
	v_sub_f16_e32 v98, v96, v98
	buffer_load_dword v96, off, s[40:43], 0 offset:148 ; 4-byte Folded Reload
	v_add_f16_e32 v98, v31, v98
	v_mul_f16_e32 v186, 0x3bf7, v186
	v_add_f16_e32 v190, v197, v190
	v_fma_f16 v221, v185, s28, v221
	v_fma_f16 v165, v113, s16, -v165
	v_add_f16_e32 v67, v215, v67
	v_fma_f16 v215, v134, s15, v186
	v_add_f16_e32 v190, v221, v190
	v_fma_f16 v208, v188, s26, v208
	v_add_f16_e32 v132, v165, v132
	v_fma_f16 v177, v118, s14, -v177
	v_add_f16_e32 v67, v215, v67
	v_mul_f16_e32 v215, 0xb461, v195
	v_add_f16_e32 v190, v208, v190
	v_fma_f16 v229, v189, s34, v229
	v_add_f16_e32 v132, v177, v132
	v_fma_f16 v183, v126, s18, -v183
	v_add_f16_e32 v190, v229, v190
	v_mul_f16_e32 v229, 0x3722, v193
	v_add_f16_e32 v132, v183, v132
	v_fma_f16 v186, v134, s15, -v186
	v_add_f16_e32 v132, v186, v132
	v_mul_f16_e32 v186, 0x3b76, v192
	v_mul_f16_e32 v208, 0x3722, v126
	;; [unrolled: 1-line block ×3, first 2 shown]
	v_add_f16_e32 v66, v166, v66
	v_fma_f16 v166, v100, s16, -v174
	v_fma_f16 v100, v100, s18, -v244
	;; [unrolled: 1-line block ×3, first 2 shown]
	v_add_f16_e32 v100, v31, v100
	v_fma_f16 v102, v102, s19, -v246
	v_add_f16_e32 v100, v102, v100
	v_fma_f16 v102, v105, s5, -v247
	;; [unrolled: 2-line block ×7, first 2 shown]
	v_add_f16_e32 v166, v31, v166
	v_add_f16_e32 v100, v102, v100
	;; [unrolled: 1-line block ×4, first 2 shown]
	v_fma_f16 v166, v105, s4, -v225
	v_add_f16_e32 v102, v70, v102
	v_add_f16_e32 v105, v154, v210
	;; [unrolled: 1-line block ×6, first 2 shown]
	v_mul_f16_e32 v195, 0xbacd, v195
	v_mul_f16_e32 v221, 0xbacd, v193
	v_add_f16_e32 v102, v105, v102
	v_add_f16_e32 v105, v176, v232
	v_mul_f16_e32 v193, 0xb8d2, v193
	v_mul_f16_e32 v177, 0xbbdd, v192
	v_add_f16_e32 v102, v105, v102
	v_add_f16_e32 v105, v180, v195
	v_mul_f16_e32 v192, 0x39e9, v192
	v_add_f16_e32 v102, v105, v102
	v_add_f16_e32 v105, v184, v193
	;; [unrolled: 1-line block ×5, first 2 shown]
	v_fma_f16 v159, v159, s26, v236
	v_add_f16_e32 v159, v70, v159
	v_fma_f16 v160, v160, s25, v237
	v_add_f16_e32 v159, v160, v159
	v_fma_f16 v160, v168, s24, v238
	v_mul_f16_e32 v197, 0xbacd, v126
	v_add_f16_e32 v62, v166, v62
	v_fma_f16 v166, v108, s19, -v211
	v_add_f16_e32 v159, v160, v159
	v_fma_f16 v160, v178, s22, v239
	v_mul_f16_e32 v165, 0xbbdd, v134
	s_waitcnt vmcnt(0)
	v_sub_f16_e32 v101, v96, v101
	buffer_load_dword v96, off, s[40:43], 0 offset:116 ; 4-byte Folded Reload
	v_add_f16_e32 v98, v101, v98
	v_sub_f16_e32 v101, v216, v104
	v_add_f16_e32 v98, v101, v98
	v_sub_f16_e32 v101, v223, v107
	;; [unrolled: 2-line block ×6, first 2 shown]
	v_add_f16_e32 v98, v101, v98
	v_add_f16_e32 v62, v166, v62
	v_fma_f16 v166, v113, s15, -v233
	v_add_f16_e32 v159, v160, v159
	v_fma_f16 v160, v181, s23, v240
	v_add_f16_e32 v62, v166, v62
	v_fma_f16 v166, v118, s5, -v198
	v_add_f16_e32 v159, v160, v159
	v_fma_f16 v160, v185, s34, v241
	v_mov_b32_e32 v171, v68
	v_add_f16_e32 v62, v166, v62
	v_fma_f16 v166, v126, s17, -v218
	v_add_f16_e32 v159, v160, v159
	v_fma_f16 v160, v188, s20, v242
	v_add_f16_e32 v62, v166, v62
	v_fma_f16 v166, v134, s14, -v205
	v_add_f16_e32 v159, v160, v159
	v_fma_f16 v160, v189, s21, v243
	v_add_f16_e32 v62, v166, v62
	v_add_f16_e32 v159, v160, v159
	s_mov_b32 s4, 0x5040100
	v_mov_b32_e32 v172, v69
	buffer_load_dword v105, off, s[40:43], 0 offset:4 ; 4-byte Folded Reload
	s_waitcnt vmcnt(1)
	v_add_f16_e32 v101, v140, v96
	buffer_load_dword v96, off, s[40:43], 0 offset:124 ; 4-byte Folded Reload
	v_add_f16_e32 v101, v70, v101
	s_waitcnt vmcnt(1)
	v_sub_f16_e32 v105, v105, v112
	s_waitcnt vmcnt(0)
	v_add_f16_e32 v104, v142, v96
	buffer_load_dword v96, off, s[40:43], 0 offset:136 ; 4-byte Folded Reload
	v_add_f16_e32 v101, v104, v101
	s_waitcnt vmcnt(0)
	v_add_f16_e32 v104, v149, v96
	buffer_load_dword v96, off, s[40:43], 0 offset:144 ; 4-byte Folded Reload
	v_add_f16_e32 v101, v104, v101
	;; [unrolled: 4-line block ×3, first 2 shown]
	s_waitcnt vmcnt(0)
	v_add_f16_e32 v104, v162, v96
	v_add_f16_e32 v101, v104, v101
	;; [unrolled: 1-line block ×7, first 2 shown]
	buffer_load_dword v96, off, s[40:43], 0 offset:92 ; 4-byte Folded Reload
	v_add_f16_e32 v101, v104, v101
	buffer_load_dword v104, off, s[40:43], 0 offset:104 ; 4-byte Folded Reload
	s_waitcnt vmcnt(1)
	v_sub_f16_e32 v96, v96, v230
	v_add_f16_e32 v96, v31, v96
	s_waitcnt vmcnt(0)
	v_sub_f16_e32 v97, v104, v97
	v_add_f16_e32 v96, v97, v96
	buffer_load_dword v97, off, s[40:43], 0 offset:112 ; 4-byte Folded Reload
	buffer_load_dword v104, off, s[40:43], 0 offset:24 ; 4-byte Folded Reload
	s_waitcnt vmcnt(1)
	v_sub_f16_e32 v97, v97, v99
	v_add_f16_e32 v96, v97, v96
	buffer_load_dword v97, off, s[40:43], 0 offset:120 ; 4-byte Folded Reload
	buffer_load_dword v99, off, s[40:43], 0 offset:76 ; 4-byte Folded Reload
	s_waitcnt vmcnt(2)
	v_add_f16_e32 v104, v117, v104
	s_waitcnt vmcnt(1)
	v_sub_f16_e32 v97, v97, v103
	v_add_f16_e32 v96, v97, v96
	buffer_load_dword v97, off, s[40:43], 0 offset:128 ; 4-byte Folded Reload
	s_waitcnt vmcnt(1)
	v_add_f16_e32 v99, v128, v99
	buffer_load_dword v103, off, s[40:43], 0 offset:48 ; 4-byte Folded Reload
	s_waitcnt vmcnt(1)
	v_sub_f16_e32 v97, v97, v106
	v_add_f16_e32 v96, v97, v96
	v_sub_f16_e32 v97, v191, v109
	v_add_f16_e32 v96, v97, v96
	;; [unrolled: 2-line block ×4, first 2 shown]
	buffer_load_dword v97, off, s[40:43], 0 offset:68 ; 4-byte Folded Reload
	s_waitcnt vmcnt(1)
	v_sub_f16_e32 v103, v103, v122
	s_waitcnt vmcnt(0)
	v_add_f16_e32 v97, v127, v97
	v_add_f16_e32 v97, v70, v97
	;; [unrolled: 1-line block ×3, first 2 shown]
	buffer_load_dword v99, off, s[40:43], 0 offset:84 ; 4-byte Folded Reload
	s_waitcnt vmcnt(0)
	v_add_f16_e32 v99, v139, v99
	v_add_f16_e32 v97, v99, v97
	buffer_load_dword v99, off, s[40:43], 0 offset:100 ; 4-byte Folded Reload
	s_waitcnt vmcnt(0)
	v_add_f16_e32 v99, v145, v99
	v_add_f16_e32 v97, v99, v97
	buffer_load_dword v99, off, s[40:43], 0 offset:108 ; 4-byte Folded Reload
	s_waitcnt vmcnt(0)
	v_add_f16_e32 v99, v151, v99
	v_add_f16_e32 v97, v99, v97
	v_add_f16_e32 v99, v158, v215
	v_add_f16_e32 v97, v99, v97
	;; [unrolled: 1-line block ×6, first 2 shown]
	buffer_load_dword v99, off, s[40:43], 0 offset:40 ; 4-byte Folded Reload
	s_waitcnt vmcnt(0)
	v_sub_f16_e32 v99, v99, v121
	v_add_f16_e32 v99, v31, v99
	v_add_f16_e32 v99, v103, v99
	buffer_load_dword v103, off, s[40:43], 0 offset:60 ; 4-byte Folded Reload
	s_waitcnt vmcnt(0)
	v_sub_f16_e32 v103, v103, v131
	v_add_f16_e32 v99, v103, v99
	buffer_load_dword v103, off, s[40:43], 0 offset:72 ; 4-byte Folded Reload
	s_waitcnt vmcnt(0)
	v_sub_f16_e32 v103, v103, v138
	;; [unrolled: 4-line block ×4, first 2 shown]
	v_add_f16_e32 v99, v103, v99
	v_sub_f16_e32 v103, v208, v157
	v_add_f16_e32 v99, v103, v99
	v_sub_f16_e32 v103, v183, v163
	v_add_f16_e32 v99, v103, v99
	buffer_load_dword v103, off, s[40:43], 0 offset:12 ; 4-byte Folded Reload
	s_waitcnt vmcnt(0)
	v_add_f16_e32 v103, v115, v103
	v_add_f16_e32 v103, v70, v103
	;; [unrolled: 1-line block ×3, first 2 shown]
	buffer_load_dword v104, off, s[40:43], 0 offset:32 ; 4-byte Folded Reload
	v_add_f16_e32 v70, v70, v74
	v_add_f16_e32 v32, v70, v32
	;; [unrolled: 1-line block ×16, first 2 shown]
	v_pack_b32_f16 v35, v99, v97
	s_waitcnt vmcnt(0)
	v_add_f16_e32 v104, v125, v104
	v_add_f16_e32 v103, v104, v103
	buffer_load_dword v104, off, s[40:43], 0 offset:44 ; 4-byte Folded Reload
	s_waitcnt vmcnt(0)
	v_add_f16_e32 v104, v130, v104
	v_add_f16_e32 v103, v104, v103
	buffer_load_dword v104, off, s[40:43], 0 offset:52 ; 4-byte Folded Reload
	;; [unrolled: 4-line block ×3, first 2 shown]
	s_waitcnt vmcnt(0)
	v_add_f16_e32 v104, v143, v104
	v_add_f16_e32 v103, v104, v103
	;; [unrolled: 1-line block ×6, first 2 shown]
	buffer_load_dword v104, off, s[40:43], 0 ; 4-byte Folded Reload
	s_waitcnt vmcnt(0)
	v_sub_f16_e32 v104, v104, v111
	v_add_f16_e32 v104, v31, v104
	v_add_f16_e32 v104, v105, v104
	buffer_load_dword v105, off, s[40:43], 0 offset:8 ; 4-byte Folded Reload
	v_add_f16_e32 v31, v31, v82
	v_add_f16_e32 v31, v31, v78
	;; [unrolled: 1-line block ×16, first 2 shown]
	v_pack_b32_f16 v31, v31, v32
	ds_write_b32 v49, v31
	v_lshl_add_u32 v31, v59, 2, v171
	v_add_u32_e32 v36, 0x400, v31
	s_waitcnt vmcnt(0)
	v_sub_f16_e32 v105, v105, v119
	v_add_f16_e32 v104, v105, v104
	buffer_load_dword v105, off, s[40:43], 0 offset:16 ; 4-byte Folded Reload
	s_waitcnt vmcnt(0)
	v_sub_f16_e32 v105, v105, v124
	v_add_f16_e32 v104, v105, v104
	buffer_load_dword v105, off, s[40:43], 0 offset:28 ; 4-byte Folded Reload
	;; [unrolled: 4-line block ×3, first 2 shown]
	s_waitcnt vmcnt(0)
	v_sub_f16_e32 v105, v105, v136
	v_add_f16_e32 v104, v105, v104
	v_sub_f16_e32 v105, v197, v141
	v_add_f16_e32 v104, v105, v104
	;; [unrolled: 2-line block ×3, first 2 shown]
	v_pack_b32_f16 v32, v104, v103
	ds_write2_b32 v31, v32, v35 offset0:52 offset1:104
	v_pack_b32_f16 v32, v96, v101
	v_pack_b32_f16 v35, v98, v102
	ds_write2_b32 v31, v32, v35 offset0:156 offset1:208
	v_pack_b32_f16 v32, v100, v159
	;; [unrolled: 3-line block ×4, first 2 shown]
	v_pack_b32_f16 v35, v65, v199
	v_add_u32_e32 v36, 0x600, v31
	ds_write2_b32 v36, v32, v35 offset0:84 offset1:136
	buffer_load_dword v32, off, s[40:43], 0 offset:96 ; 4-byte Folded Reload
	buffer_load_dword v35, off, s[40:43], 0 offset:132 ; 4-byte Folded Reload
	s_waitcnt vmcnt(0)
	v_pack_b32_f16 v32, v35, v32
	buffer_load_dword v35, off, s[40:43], 0 offset:20 ; 4-byte Folded Reload
	buffer_load_dword v36, off, s[40:43], 0 offset:56 ; 4-byte Folded Reload
	s_waitcnt vmcnt(0)
	v_pack_b32_f16 v35, v36, v35
	v_add_u32_e32 v36, 0x800, v31
	ds_write2_b32 v36, v32, v35 offset0:60 offset1:112
	v_perm_b32 v32, v73, v29, s4
	v_perm_b32 v35, v72, v30, s4
	ds_write2_b32 v36, v32, v35 offset0:164 offset1:216
	v_perm_b32 v32, v71, v46, s4
	v_perm_b32 v35, v45, v44, s4
	v_add_u32_e32 v31, 0xc00, v31
	ds_write2_b32 v31, v32, v35 offset0:12 offset1:64
.LBB0_9:
	s_or_b64 exec, exec, s[2:3]
	s_waitcnt lgkmcnt(0)
	s_barrier
	global_load_dword v36, v[33:34], off offset:3536
	s_add_u32 s2, s12, 0xdd0
	s_addc_u32 s3, s13, 0
	global_load_dword v42, v63, s[2:3] offset:272
	global_load_dword v62, v63, s[2:3] offset:544
	global_load_dword v65, v63, s[2:3] offset:816
	global_load_dword v66, v63, s[2:3] offset:1088
	global_load_dword v67, v63, s[2:3] offset:1360
	global_load_dword v70, v63, s[2:3] offset:1632
	global_load_dword v76, v63, s[2:3] offset:1904
	global_load_dword v77, v63, s[2:3] offset:2176
	global_load_dword v78, v63, s[2:3] offset:2448
	global_load_dword v79, v63, s[2:3] offset:2720
	v_add_u32_e32 v80, 0x200, v49
	ds_read2_b32 v[31:32], v49 offset1:68
	v_lshl_add_u32 v43, v59, 2, v171
	ds_read2_b32 v[33:34], v80 offset0:8 offset1:144
	ds_read_b32 v82, v43 offset:816
	global_load_dword v83, v63, s[2:3] offset:2992
	v_add_u32_e32 v37, 0x400, v49
	v_add_u32_e32 v81, 0x600, v49
	;; [unrolled: 1-line block ×3, first 2 shown]
	ds_read2_b32 v[38:39], v37 offset0:84 offset1:152
	ds_read2_b32 v[40:41], v81 offset0:92 offset1:160
	;; [unrolled: 1-line block ×3, first 2 shown]
	global_load_dword v63, v63, s[2:3] offset:3264
	s_waitcnt lgkmcnt(5)
	v_lshrrev_b32_e32 v84, 16, v31
	v_lshrrev_b32_e32 v85, 16, v32
	s_waitcnt lgkmcnt(4)
	v_lshrrev_b32_e32 v86, 16, v33
	s_waitcnt lgkmcnt(3)
	v_lshrrev_b32_e32 v87, 16, v82
	v_lshrrev_b32_e32 v88, 16, v34
	s_waitcnt lgkmcnt(2)
	v_lshrrev_b32_e32 v89, 16, v38
	;; [unrolled: 3-line block ×3, first 2 shown]
	v_lshrrev_b32_e32 v92, 16, v41
	s_mov_b32 s19, 0xb770
	s_movk_i32 s13, 0x3b15
	s_mov_b32 s17, 0xba95
	s_mov_b32 s2, 0xffff
	s_movk_i32 s5, 0x388b
	s_mov_b32 s14, 0xbb7b
	;; [unrolled: 3-line block ×3, first 2 shown]
	s_movk_i32 s3, 0x2fb7
	s_mov_b32 s21, 0xb3a8
	s_movk_i32 s20, 0x3b7b
	s_mov_b32 s22, 0xbbc4
	s_movk_i32 s4, 0x3bf1
	s_movk_i32 s23, 0x394e
	s_mov_b32 s18, 0xb9fd
	s_movk_i32 s25, 0x33a8
	s_mov_b32 s16, 0xb94e
	s_movk_i32 s26, 0x3770
	s_waitcnt vmcnt(9)
	v_mul_f16_sdwa v95, v87, v65 dst_sel:DWORD dst_unused:UNUSED_PAD src0_sel:DWORD src1_sel:WORD_1
	v_mul_f16_sdwa v96, v82, v65 dst_sel:DWORD dst_unused:UNUSED_PAD src0_sel:DWORD src1_sel:WORD_1
	s_waitcnt vmcnt(8)
	v_mul_f16_sdwa v97, v88, v66 dst_sel:DWORD dst_unused:UNUSED_PAD src0_sel:DWORD src1_sel:WORD_1
	v_mul_f16_sdwa v98, v34, v66 dst_sel:DWORD dst_unused:UNUSED_PAD src0_sel:DWORD src1_sel:WORD_1
	;; [unrolled: 1-line block ×4, first 2 shown]
	v_fma_f16 v31, v31, v36, -v93
	v_fma_f16 v36, v84, v36, v94
	v_pack_b32_f16 v31, v31, v36
	v_mul_f16_sdwa v36, v85, v42 dst_sel:DWORD dst_unused:UNUSED_PAD src0_sel:DWORD src1_sel:WORD_1
	v_mul_f16_sdwa v84, v32, v42 dst_sel:DWORD dst_unused:UNUSED_PAD src0_sel:DWORD src1_sel:WORD_1
	;; [unrolled: 1-line block ×4, first 2 shown]
	s_waitcnt vmcnt(7)
	v_mul_f16_sdwa v99, v89, v67 dst_sel:DWORD dst_unused:UNUSED_PAD src0_sel:DWORD src1_sel:WORD_1
	v_mul_f16_sdwa v100, v38, v67 dst_sel:DWORD dst_unused:UNUSED_PAD src0_sel:DWORD src1_sel:WORD_1
	s_waitcnt vmcnt(6)
	v_mul_f16_sdwa v101, v90, v70 dst_sel:DWORD dst_unused:UNUSED_PAD src0_sel:DWORD src1_sel:WORD_1
	v_mul_f16_sdwa v102, v39, v70 dst_sel:DWORD dst_unused:UNUSED_PAD src0_sel:DWORD src1_sel:WORD_1
	;; [unrolled: 3-line block ×4, first 2 shown]
	v_fma_f16 v32, v32, v42, -v36
	v_fma_f16 v36, v85, v42, v84
	v_fma_f16 v33, v33, v62, -v93
	v_fma_f16 v42, v86, v62, v94
	;; [unrolled: 2-line block ×8, first 2 shown]
	v_pack_b32_f16 v32, v32, v36
	v_pack_b32_f16 v33, v33, v42
	;; [unrolled: 1-line block ×7, first 2 shown]
	ds_write2_b32 v49, v31, v32 offset1:68
	ds_write_b32 v43, v36 offset:816
	ds_write2_b32 v80, v33, v34 offset0:8 offset1:144
	ds_write2_b32 v37, v38, v39 offset0:84 offset1:152
	v_pack_b32_f16 v31, v41, v77
	ds_write2_b32 v81, v40, v31 offset0:92 offset1:160
	s_waitcnt lgkmcnt(5)
	v_lshrrev_b32_e32 v31, 16, v74
	s_waitcnt vmcnt(3)
	v_mul_f16_sdwa v32, v31, v78 dst_sel:DWORD dst_unused:UNUSED_PAD src0_sel:DWORD src1_sel:WORD_1
	v_mul_f16_sdwa v33, v74, v78 dst_sel:DWORD dst_unused:UNUSED_PAD src0_sel:DWORD src1_sel:WORD_1
	v_fma_f16 v32, v74, v78, -v32
	v_fma_f16 v31, v31, v78, v33
	v_lshrrev_b32_e32 v34, 16, v75
	v_pack_b32_f16 v33, v32, v31
	s_waitcnt vmcnt(2)
	v_mul_f16_sdwa v31, v34, v79 dst_sel:DWORD dst_unused:UNUSED_PAD src0_sel:DWORD src1_sel:WORD_1
	v_add_u32_e32 v62, 0xa00, v49
	v_fma_f16 v36, v75, v79, -v31
	ds_read2_b32 v[31:32], v62 offset0:108 offset1:176
	v_mul_f16_sdwa v38, v75, v79 dst_sel:DWORD dst_unused:UNUSED_PAD src0_sel:DWORD src1_sel:WORD_1
	v_fma_f16 v34, v34, v79, v38
	v_pack_b32_f16 v34, v36, v34
	ds_write2_b32 v35, v33, v34 offset0:100 offset1:168
	s_waitcnt lgkmcnt(1)
	v_lshrrev_b32_e32 v33, 16, v31
	s_waitcnt vmcnt(1)
	v_mul_f16_sdwa v34, v33, v83 dst_sel:DWORD dst_unused:UNUSED_PAD src0_sel:DWORD src1_sel:WORD_1
	v_fma_f16 v34, v31, v83, -v34
	v_mul_f16_sdwa v31, v31, v83 dst_sel:DWORD dst_unused:UNUSED_PAD src0_sel:DWORD src1_sel:WORD_1
	v_fma_f16 v31, v33, v83, v31
	v_lshrrev_b32_e32 v33, 16, v32
	v_pack_b32_f16 v31, v34, v31
	s_waitcnt vmcnt(0)
	v_mul_f16_sdwa v34, v33, v63 dst_sel:DWORD dst_unused:UNUSED_PAD src0_sel:DWORD src1_sel:WORD_1
	v_fma_f16 v34, v32, v63, -v34
	v_mul_f16_sdwa v32, v32, v63 dst_sel:DWORD dst_unused:UNUSED_PAD src0_sel:DWORD src1_sel:WORD_1
	v_fma_f16 v32, v33, v63, v32
	v_pack_b32_f16 v32, v34, v32
	ds_write2_b32 v62, v31, v32 offset0:108 offset1:176
	s_waitcnt lgkmcnt(0)
	s_barrier
	ds_read_b32 v36, v43 offset:816
	ds_read2_b32 v[31:32], v80 offset0:8 offset1:144
	ds_read2_b32 v[33:34], v49 offset1:68
	ds_read2_b32 v[38:39], v37 offset0:84 offset1:152
	ds_read2_b32 v[40:41], v81 offset0:92 offset1:160
	;; [unrolled: 1-line block ×4, first 2 shown]
	s_waitcnt lgkmcnt(4)
	v_pk_add_f16 v42, v33, v34
	v_pk_add_f16 v42, v42, v31
	;; [unrolled: 1-line block ×4, first 2 shown]
	s_waitcnt lgkmcnt(3)
	v_pk_add_f16 v42, v42, v38
	v_pk_add_f16 v42, v42, v39
	s_waitcnt lgkmcnt(2)
	v_pk_add_f16 v42, v42, v40
	v_pk_add_f16 v42, v42, v41
	s_waitcnt lgkmcnt(1)
	v_pk_add_f16 v42, v42, v74
	s_waitcnt lgkmcnt(0)
	v_pk_add_f16 v63, v77, v34
	v_pk_add_f16 v34, v34, v77 neg_lo:[0,1] neg_hi:[0,1]
	v_pk_add_f16 v42, v42, v75
	v_pk_mul_f16 v65, v34, s19 op_sel_hi:[1,0]
	v_pk_add_f16 v92, v76, v31
	v_pk_add_f16 v31, v31, v76 neg_lo:[0,1] neg_hi:[0,1]
	v_pk_add_f16 v42, v42, v76
	v_pk_fma_f16 v66, v63, s13, v65 op_sel:[0,0,1] op_sel_hi:[1,0,0]
	v_pk_fma_f16 v65, v63, s13, v65 op_sel:[0,0,1] op_sel_hi:[1,0,0] neg_lo:[0,0,1] neg_hi:[0,0,1]
	v_pk_mul_f16 v76, v31, s17 op_sel_hi:[1,0]
	v_bfi_b32 v67, s2, v66, v65
	v_pk_fma_f16 v93, v92, s5, v76 op_sel:[0,0,1] op_sel_hi:[1,0,0]
	v_pk_fma_f16 v76, v92, s5, v76 op_sel:[0,0,1] op_sel_hi:[1,0,0] neg_lo:[0,0,1] neg_hi:[0,0,1]
	v_pk_add_f16 v67, v33, v67
	v_mul_f16_sdwa v70, v34, s17 dst_sel:DWORD dst_unused:UNUSED_PAD src0_sel:WORD_1 src1_sel:DWORD
	v_bfi_b32 v94, s2, v93, v76
	v_pk_add_f16 v42, v42, v77
	v_fma_f16 v77, v63, s5, v70
	v_pk_add_f16 v67, v94, v67
	v_mul_f16_sdwa v94, v31, s14 dst_sel:DWORD dst_unused:UNUSED_PAD src0_sel:WORD_1 src1_sel:DWORD
	v_add_f16_e32 v77, v33, v77
	v_mul_f16_sdwa v78, v63, s5 dst_sel:DWORD dst_unused:UNUSED_PAD src0_sel:WORD_1 src1_sel:DWORD
	v_fma_f16 v70, v63, s5, -v70
	v_fma_f16 v95, v92, s15, v94
	v_fma_f16 v79, v34, s12, v78
	v_add_f16_e32 v70, v33, v70
	v_fma_f16 v78, v34, s17, v78
	v_add_f16_e32 v77, v95, v77
	v_mul_f16_sdwa v95, v92, s15 dst_sel:DWORD dst_unused:UNUSED_PAD src0_sel:WORD_1 src1_sel:DWORD
	v_fma_f16 v94, v92, s15, -v94
	v_add_f16_sdwa v78, v33, v78 dst_sel:DWORD dst_unused:UNUSED_PAD src0_sel:WORD_1 src1_sel:DWORD
	v_mul_f16_sdwa v80, v34, s24 dst_sel:DWORD dst_unused:UNUSED_PAD src0_sel:WORD_1 src1_sel:DWORD
	v_add_f16_e32 v70, v94, v70
	v_fma_f16 v94, v31, s14, v95
	v_fma_f16 v81, v63, s3, v80
	v_add_f16_e32 v78, v94, v78
	v_mul_f16_sdwa v94, v31, s21 dst_sel:DWORD dst_unused:UNUSED_PAD src0_sel:WORD_1 src1_sel:DWORD
	v_add_f16_e32 v81, v33, v81
	v_mul_f16_sdwa v82, v63, s3 dst_sel:DWORD dst_unused:UNUSED_PAD src0_sel:WORD_1 src1_sel:DWORD
	v_fma_f16 v80, v63, s3, -v80
	v_fma_f16 v96, v31, s20, v95
	v_fma_f16 v95, v92, s22, v94
	v_fma_f16 v83, v34, s4, v82
	v_add_f16_e32 v80, v33, v80
	v_fma_f16 v82, v34, s24, v82
	v_add_f16_e32 v81, v95, v81
	v_mul_f16_sdwa v95, v92, s22 dst_sel:DWORD dst_unused:UNUSED_PAD src0_sel:WORD_1 src1_sel:DWORD
	v_fma_f16 v94, v92, s22, -v94
	v_add_f16_sdwa v82, v33, v82 dst_sel:DWORD dst_unused:UNUSED_PAD src0_sel:WORD_1 src1_sel:DWORD
	v_mul_f16_sdwa v84, v34, s14 dst_sel:DWORD dst_unused:UNUSED_PAD src0_sel:WORD_1 src1_sel:DWORD
	v_add_f16_e32 v80, v94, v80
	v_fma_f16 v94, v31, s21, v95
	v_add_f16_sdwa v79, v33, v79 dst_sel:DWORD dst_unused:UNUSED_PAD src0_sel:WORD_1 src1_sel:DWORD
	v_fma_f16 v85, v63, s15, v84
	v_add_f16_e32 v82, v94, v82
	v_mul_f16_sdwa v94, v31, s23 dst_sel:DWORD dst_unused:UNUSED_PAD src0_sel:WORD_1 src1_sel:DWORD
	v_add_f16_e32 v85, v33, v85
	v_mul_f16_sdwa v86, v63, s15 dst_sel:DWORD dst_unused:UNUSED_PAD src0_sel:WORD_1 src1_sel:DWORD
	v_fma_f16 v84, v63, s15, -v84
	v_add_f16_e32 v79, v96, v79
	v_fma_f16 v96, v31, s25, v95
	v_fma_f16 v95, v92, s18, v94
	;; [unrolled: 1-line block ×3, first 2 shown]
	v_add_f16_e32 v84, v33, v84
	v_fma_f16 v86, v34, s14, v86
	v_add_f16_e32 v85, v95, v85
	v_mul_f16_sdwa v95, v92, s18 dst_sel:DWORD dst_unused:UNUSED_PAD src0_sel:WORD_1 src1_sel:DWORD
	v_fma_f16 v94, v92, s18, -v94
	v_add_f16_sdwa v86, v33, v86 dst_sel:DWORD dst_unused:UNUSED_PAD src0_sel:WORD_1 src1_sel:DWORD
	v_mul_f16_sdwa v88, v34, s16 dst_sel:DWORD dst_unused:UNUSED_PAD src0_sel:WORD_1 src1_sel:DWORD
	v_add_f16_e32 v84, v94, v84
	v_fma_f16 v94, v31, s23, v95
	v_add_f16_sdwa v83, v33, v83 dst_sel:DWORD dst_unused:UNUSED_PAD src0_sel:WORD_1 src1_sel:DWORD
	v_fma_f16 v89, v63, s18, v88
	v_add_f16_e32 v86, v94, v86
	v_mul_f16_sdwa v94, v31, s4 dst_sel:DWORD dst_unused:UNUSED_PAD src0_sel:WORD_1 src1_sel:DWORD
	v_add_f16_e32 v89, v33, v89
	v_mul_f16_sdwa v90, v63, s18 dst_sel:DWORD dst_unused:UNUSED_PAD src0_sel:WORD_1 src1_sel:DWORD
	v_fma_f16 v88, v63, s18, -v88
	v_add_f16_e32 v83, v96, v83
	v_fma_f16 v96, v31, s16, v95
	v_fma_f16 v95, v92, s3, v94
	;; [unrolled: 1-line block ×3, first 2 shown]
	v_add_f16_e32 v88, v33, v88
	v_fma_f16 v90, v34, s16, v90
	v_add_f16_e32 v89, v95, v89
	v_mul_f16_sdwa v95, v92, s3 dst_sel:DWORD dst_unused:UNUSED_PAD src0_sel:WORD_1 src1_sel:DWORD
	v_fma_f16 v94, v92, s3, -v94
	v_add_f16_sdwa v90, v33, v90 dst_sel:DWORD dst_unused:UNUSED_PAD src0_sel:WORD_1 src1_sel:DWORD
	v_add_f16_e32 v88, v94, v88
	v_fma_f16 v94, v31, s4, v95
	v_add_f16_e32 v90, v94, v90
	v_pk_add_f16 v94, v75, v36
	v_pk_add_f16 v36, v36, v75 neg_lo:[0,1] neg_hi:[0,1]
	v_add_f16_sdwa v87, v33, v87 dst_sel:DWORD dst_unused:UNUSED_PAD src0_sel:WORD_1 src1_sel:DWORD
	v_pk_mul_f16 v75, v36, s24 op_sel_hi:[1,0]
	v_add_f16_sdwa v91, v33, v91 dst_sel:DWORD dst_unused:UNUSED_PAD src0_sel:WORD_1 src1_sel:DWORD
	v_add_f16_e32 v87, v96, v87
	v_fma_f16 v96, v31, s24, v95
	v_pk_fma_f16 v95, v94, s3, v75 op_sel:[0,0,1] op_sel_hi:[1,0,0]
	v_pk_fma_f16 v75, v94, s3, v75 op_sel:[0,0,1] op_sel_hi:[1,0,0] neg_lo:[0,0,1] neg_hi:[0,0,1]
	v_add_f16_e32 v91, v96, v91
	v_bfi_b32 v96, s2, v95, v75
	v_pk_add_f16 v67, v96, v67
	v_mul_f16_sdwa v96, v36, s21 dst_sel:DWORD dst_unused:UNUSED_PAD src0_sel:WORD_1 src1_sel:DWORD
	v_fma_f16 v97, v94, s22, v96
	v_add_f16_e32 v77, v97, v77
	v_mul_f16_sdwa v97, v94, s22 dst_sel:DWORD dst_unused:UNUSED_PAD src0_sel:WORD_1 src1_sel:DWORD
	v_fma_f16 v96, v94, s22, -v96
	v_add_f16_e32 v70, v96, v70
	v_fma_f16 v96, v36, s21, v97
	v_add_f16_e32 v78, v96, v78
	v_mul_f16_sdwa v96, v36, s20 dst_sel:DWORD dst_unused:UNUSED_PAD src0_sel:WORD_1 src1_sel:DWORD
	v_fma_f16 v98, v36, s25, v97
	v_fma_f16 v97, v94, s15, v96
	v_add_f16_e32 v81, v97, v81
	v_mul_f16_sdwa v97, v94, s15 dst_sel:DWORD dst_unused:UNUSED_PAD src0_sel:WORD_1 src1_sel:DWORD
	v_fma_f16 v96, v94, s15, -v96
	v_add_f16_e32 v80, v96, v80
	v_fma_f16 v96, v36, s20, v97
	v_add_f16_e32 v82, v96, v82
	v_mul_f16_sdwa v96, v36, s26 dst_sel:DWORD dst_unused:UNUSED_PAD src0_sel:WORD_1 src1_sel:DWORD
	v_add_f16_e32 v79, v98, v79
	v_fma_f16 v98, v36, s14, v97
	v_fma_f16 v97, v94, s13, v96
	v_add_f16_e32 v85, v97, v85
	v_mul_f16_sdwa v97, v94, s13 dst_sel:DWORD dst_unused:UNUSED_PAD src0_sel:WORD_1 src1_sel:DWORD
	v_fma_f16 v96, v94, s13, -v96
	v_add_f16_e32 v84, v96, v84
	v_fma_f16 v96, v36, s26, v97
	v_add_f16_e32 v86, v96, v86
	v_mul_f16_sdwa v96, v36, s17 dst_sel:DWORD dst_unused:UNUSED_PAD src0_sel:WORD_1 src1_sel:DWORD
	v_add_f16_e32 v83, v98, v83
	v_fma_f16 v98, v36, s19, v97
	v_fma_f16 v97, v94, s5, v96
	v_add_f16_e32 v89, v97, v89
	v_mul_f16_sdwa v97, v94, s5 dst_sel:DWORD dst_unused:UNUSED_PAD src0_sel:WORD_1 src1_sel:DWORD
	v_fma_f16 v96, v94, s5, -v96
	v_add_f16_e32 v88, v96, v88
	v_fma_f16 v96, v36, s17, v97
	v_add_f16_e32 v90, v96, v90
	v_pk_add_f16 v96, v74, v32
	v_pk_add_f16 v32, v32, v74 neg_lo:[0,1] neg_hi:[0,1]
	v_pk_mul_f16 v74, v32, s14 op_sel_hi:[1,0]
	v_add_f16_e32 v87, v98, v87
	v_fma_f16 v98, v36, s12, v97
	v_pk_fma_f16 v97, v96, s15, v74 op_sel:[0,0,1] op_sel_hi:[1,0,0]
	v_pk_fma_f16 v74, v96, s15, v74 op_sel:[0,0,1] op_sel_hi:[1,0,0] neg_lo:[0,0,1] neg_hi:[0,0,1]
	v_add_f16_e32 v91, v98, v91
	v_bfi_b32 v98, s2, v97, v74
	v_pk_add_f16 v67, v98, v67
	v_mul_f16_sdwa v98, v32, s23 dst_sel:DWORD dst_unused:UNUSED_PAD src0_sel:WORD_1 src1_sel:DWORD
	v_fma_f16 v99, v96, s18, v98
	v_add_f16_e32 v77, v99, v77
	v_mul_f16_sdwa v99, v96, s18 dst_sel:DWORD dst_unused:UNUSED_PAD src0_sel:WORD_1 src1_sel:DWORD
	v_fma_f16 v98, v96, s18, -v98
	v_add_f16_e32 v70, v98, v70
	v_fma_f16 v98, v32, s23, v99
	v_add_f16_e32 v78, v98, v78
	v_mul_f16_sdwa v98, v32, s26 dst_sel:DWORD dst_unused:UNUSED_PAD src0_sel:WORD_1 src1_sel:DWORD
	v_fma_f16 v100, v32, s16, v99
	v_fma_f16 v99, v96, s13, v98
	v_add_f16_e32 v81, v99, v81
	v_mul_f16_sdwa v99, v96, s13 dst_sel:DWORD dst_unused:UNUSED_PAD src0_sel:WORD_1 src1_sel:DWORD
	v_fma_f16 v98, v96, s13, -v98
	v_add_f16_e32 v80, v98, v80
	v_fma_f16 v98, v32, s26, v99
	v_add_f16_e32 v82, v98, v82
	v_mul_f16_sdwa v98, v32, s24 dst_sel:DWORD dst_unused:UNUSED_PAD src0_sel:WORD_1 src1_sel:DWORD
	v_add_f16_e32 v79, v100, v79
	v_fma_f16 v100, v32, s19, v99
	v_fma_f16 v99, v96, s3, v98
	v_add_f16_e32 v85, v99, v85
	v_mul_f16_sdwa v99, v96, s3 dst_sel:DWORD dst_unused:UNUSED_PAD src0_sel:WORD_1 src1_sel:DWORD
	v_fma_f16 v98, v96, s3, -v98
	v_add_f16_e32 v84, v98, v84
	v_fma_f16 v98, v32, s24, v99
	v_add_f16_e32 v86, v98, v86
	v_mul_f16_sdwa v98, v32, s25 dst_sel:DWORD dst_unused:UNUSED_PAD src0_sel:WORD_1 src1_sel:DWORD
	v_add_f16_e32 v83, v100, v83
	v_fma_f16 v100, v32, s4, v99
	v_fma_f16 v99, v96, s22, v98
	v_add_f16_e32 v89, v99, v89
	v_mul_f16_sdwa v99, v96, s22 dst_sel:DWORD dst_unused:UNUSED_PAD src0_sel:WORD_1 src1_sel:DWORD
	v_fma_f16 v98, v96, s22, -v98
	v_add_f16_e32 v88, v98, v88
	v_fma_f16 v98, v32, s25, v99
	v_add_f16_e32 v90, v98, v90
	v_pk_add_f16 v98, v41, v38
	v_pk_add_f16 v38, v38, v41 neg_lo:[0,1] neg_hi:[0,1]
	v_pk_mul_f16 v41, v38, s16 op_sel_hi:[1,0]
	;; [unrolled: 47-line block ×3, first 2 shown]
	v_add_f16_e32 v87, v102, v87
	v_fma_f16 v102, v38, s19, v101
	v_pk_fma_f16 v101, v100, s22, v40 op_sel:[0,0,1] op_sel_hi:[1,0,0]
	v_pk_fma_f16 v40, v100, s22, v40 op_sel:[0,0,1] op_sel_hi:[1,0,0] neg_lo:[0,0,1] neg_hi:[0,0,1]
	v_add_f16_e32 v91, v102, v91
	v_bfi_b32 v102, s2, v101, v40
	v_pk_add_f16 v67, v102, v67
	v_mul_f16_sdwa v102, v39, s26 dst_sel:DWORD dst_unused:UNUSED_PAD src0_sel:WORD_1 src1_sel:DWORD
	v_fma_f16 v103, v100, s13, v102
	v_add_f16_e32 v77, v103, v77
	v_mul_f16_sdwa v103, v100, s13 dst_sel:DWORD dst_unused:UNUSED_PAD src0_sel:WORD_1 src1_sel:DWORD
	v_fma_f16 v102, v100, s13, -v102
	v_add_f16_e32 v70, v102, v70
	v_fma_f16 v102, v39, s26, v103
	v_add_f16_e32 v78, v102, v78
	v_mul_f16_sdwa v102, v39, s16 dst_sel:DWORD dst_unused:UNUSED_PAD src0_sel:WORD_1 src1_sel:DWORD
	v_fma_f16 v104, v39, s19, v103
	v_fma_f16 v103, v100, s18, v102
	v_add_f16_e32 v81, v103, v81
	v_mul_f16_sdwa v103, v100, s18 dst_sel:DWORD dst_unused:UNUSED_PAD src0_sel:WORD_1 src1_sel:DWORD
	v_fma_f16 v102, v100, s18, -v102
	v_add_f16_e32 v80, v102, v80
	v_fma_f16 v102, v39, s16, v103
	v_add_f16_e32 v82, v102, v82
	v_mul_f16_sdwa v102, v39, s12 dst_sel:DWORD dst_unused:UNUSED_PAD src0_sel:WORD_1 src1_sel:DWORD
	v_add_f16_e32 v79, v104, v79
	v_fma_f16 v104, v39, s23, v103
	v_fma_f16 v103, v100, s5, v102
	v_add_f16_e32 v85, v103, v85
	v_mul_f16_sdwa v103, v100, s5 dst_sel:DWORD dst_unused:UNUSED_PAD src0_sel:WORD_1 src1_sel:DWORD
	v_fma_f16 v102, v100, s5, -v102
	v_add_f16_e32 v84, v102, v84
	v_fma_f16 v102, v39, s12, v103
	v_add_f16_e32 v86, v102, v86
	v_mul_f16_sdwa v102, v39, s14 dst_sel:DWORD dst_unused:UNUSED_PAD src0_sel:WORD_1 src1_sel:DWORD
	v_add_f16_e32 v83, v104, v83
	v_fma_f16 v104, v39, s17, v103
	v_fma_f16 v103, v100, s15, v102
	v_add_f16_e32 v89, v103, v89
	v_mul_f16_sdwa v103, v100, s15 dst_sel:DWORD dst_unused:UNUSED_PAD src0_sel:WORD_1 src1_sel:DWORD
	v_add_f16_e32 v87, v104, v87
	v_fma_f16 v104, v39, s20, v103
	v_add_f16_e32 v91, v104, v91
	s_barrier
	ds_write2_b32 v64, v42, v67 offset1:1
	v_pack_b32_f16 v42, v81, v83
	v_pack_b32_f16 v67, v77, v79
	ds_write2_b32 v64, v67, v42 offset0:2 offset1:3
	v_pack_b32_f16 v42, v89, v91
	v_pack_b32_f16 v67, v85, v87
	ds_write2_b32 v64, v67, v42 offset0:4 offset1:5
	v_pk_mul_f16 v42, v63, s22 op_sel_hi:[1,0]
	v_pk_fma_f16 v63, v34, s21, v42 op_sel:[0,0,1] op_sel_hi:[1,0,0]
	v_pk_fma_f16 v34, v34, s21, v42 op_sel:[0,0,1] op_sel_hi:[1,0,0] neg_lo:[1,0,0] neg_hi:[1,0,0]
	v_alignbit_b32 v42, s0, v33, 16
	v_alignbit_b32 v67, s0, v63, 16
	v_pk_add_f16 v42, v42, v63
	v_pk_mul_f16 v63, v92, s13 op_sel_hi:[1,0]
	v_pk_add_f16 v34, v33, v34 op_sel:[1,0] op_sel_hi:[0,1]
	v_pk_fma_f16 v77, v31, s26, v63 op_sel:[0,0,1] op_sel_hi:[1,0,0]
	v_pk_fma_f16 v31, v31, s26, v63 op_sel:[0,0,1] op_sel_hi:[1,0,0] neg_lo:[1,0,0] neg_hi:[1,0,0]
	v_pk_add_f16 v31, v31, v34
	v_pk_add_f16 v34, v77, v42
	v_pk_mul_f16 v42, v94, s18 op_sel_hi:[1,0]
	v_pk_fma_f16 v63, v36, s16, v42 op_sel:[0,0,1] op_sel_hi:[1,0,0]
	v_pk_fma_f16 v36, v36, s16, v42 op_sel:[0,0,1] op_sel_hi:[1,0,0] neg_lo:[1,0,0] neg_hi:[1,0,0]
	v_pk_add_f16 v31, v36, v31
	v_pk_mul_f16 v36, v96, s5 op_sel_hi:[1,0]
	v_pk_add_f16 v34, v63, v34
	v_pk_fma_f16 v42, v32, s12, v36 op_sel:[0,0,1] op_sel_hi:[1,0,0]
	v_pk_fma_f16 v32, v32, s12, v36 op_sel:[0,0,1] op_sel_hi:[1,0,0] neg_lo:[1,0,0] neg_hi:[1,0,0]
	v_pk_add_f16 v67, v33, v67
	v_alignbit_b32 v79, s0, v77, 16
	v_pk_add_f16 v31, v32, v31
	v_pk_add_f16 v32, v42, v34
	v_pk_mul_f16 v34, v98, s15 op_sel_hi:[1,0]
	v_pk_add_f16 v67, v79, v67
	v_alignbit_b32 v77, s0, v63, 16
	v_pk_fma_f16 v36, v38, s14, v34 op_sel:[0,0,1] op_sel_hi:[1,0,0]
	v_pk_fma_f16 v34, v38, s14, v34 op_sel:[0,0,1] op_sel_hi:[1,0,0] neg_lo:[1,0,0] neg_hi:[1,0,0]
	v_pk_add_f16 v67, v77, v67
	v_alignbit_b32 v63, s0, v42, 16
	v_pk_add_f16 v31, v34, v31
	v_pk_mul_f16 v34, v100, s3 op_sel_hi:[1,0]
	v_pk_add_f16 v63, v63, v67
	v_alignbit_b32 v42, s0, v36, 16
	v_pk_add_f16 v32, v36, v32
	v_pk_fma_f16 v36, v39, s4, v34 op_sel:[0,0,1] op_sel_hi:[1,0,0]
	v_fma_f16 v102, v100, s15, -v102
	v_pk_add_f16 v42, v42, v63
	v_alignbit_b32 v38, s0, v36, 16
	v_pk_fma_f16 v34, v39, s4, v34 op_sel:[0,0,1] op_sel_hi:[1,0,0] neg_lo:[1,0,0] neg_hi:[1,0,0]
	v_add_f16_e32 v88, v102, v88
	v_fma_f16 v102, v39, s14, v103
	v_pk_add_f16 v38, v38, v42
	v_pk_add_f16 v31, v34, v31
	;; [unrolled: 1-line block ×3, first 2 shown]
	v_add_f16_e32 v90, v102, v90
	v_alignbit_b32 v32, v32, v31, 16
	v_pack_b32_f16 v31, v38, v31
	ds_write2_b32 v64, v31, v32 offset0:6 offset1:7
	v_pack_b32_f16 v31, v84, v86
	v_pack_b32_f16 v32, v88, v90
	ds_write2_b32 v64, v32, v31 offset0:8 offset1:9
	v_pack_b32_f16 v31, v70, v78
	v_pack_b32_f16 v32, v80, v82
	ds_write2_b32 v64, v32, v31 offset0:10 offset1:11
	v_bfi_b32 v31, s2, v65, v66
	v_pk_add_f16 v31, v33, v31
	v_bfi_b32 v32, s2, v76, v93
	v_pk_add_f16 v31, v32, v31
	v_bfi_b32 v32, s2, v75, v95
	v_pk_add_f16 v31, v32, v31
	v_bfi_b32 v32, s2, v74, v97
	v_pk_add_f16 v31, v32, v31
	v_bfi_b32 v32, s2, v41, v99
	v_pk_add_f16 v31, v32, v31
	v_bfi_b32 v32, s2, v40, v101
	v_pk_add_f16 v76, v32, v31
	ds_write_b32 v64, v76 offset:48
	s_waitcnt lgkmcnt(0)
	s_barrier
	ds_read2_b32 v[33:34], v49 offset1:68
	ds_read2_b32 v[31:32], v49 offset0:136 offset1:221
	ds_read2_b32 v[41:42], v37 offset0:186 offset1:254
	;; [unrolled: 1-line block ×5, first 2 shown]
	v_lshrrev_b32_e32 v77, 16, v76
	s_and_saveexec_b64 s[2:3], vcc
	s_cbranch_execz .LBB0_11
; %bb.10:
	v_add_u32_e32 v29, 0x680, v49
	ds_read_b32 v76, v43 offset:816
	ds_read2_b32 v[29:30], v29 offset0:9 offset1:230
	ds_read_b32 v46, v49 offset:3468
	s_waitcnt lgkmcnt(2)
	v_lshrrev_b32_e32 v77, 16, v76
	s_waitcnt lgkmcnt(1)
	v_lshrrev_b32_e32 v73, 16, v29
	v_lshrrev_b32_e32 v72, 16, v30
	s_waitcnt lgkmcnt(0)
	v_lshrrev_b32_e32 v71, 16, v46
.LBB0_11:
	s_or_b64 exec, exec, s[2:3]
	s_waitcnt lgkmcnt(4)
	v_lshrrev_b32_e32 v63, 16, v32
	v_mul_f16_sdwa v81, v16, v63 dst_sel:DWORD dst_unused:UNUSED_PAD src0_sel:WORD_1 src1_sel:DWORD
	s_waitcnt lgkmcnt(3)
	v_lshrrev_b32_e32 v64, 16, v41
	v_fma_f16 v81, v16, v32, v81
	v_mul_f16_sdwa v32, v16, v32 dst_sel:DWORD dst_unused:UNUSED_PAD src0_sel:WORD_1 src1_sel:DWORD
	v_fma_f16 v16, v16, v63, -v32
	v_mul_f16_sdwa v32, v17, v64 dst_sel:DWORD dst_unused:UNUSED_PAD src0_sel:WORD_1 src1_sel:DWORD
	s_waitcnt lgkmcnt(2)
	v_lshrrev_b32_e32 v65, 16, v36
	v_fma_f16 v32, v17, v41, v32
	v_mul_f16_sdwa v41, v17, v41 dst_sel:DWORD dst_unused:UNUSED_PAD src0_sel:WORD_1 src1_sel:DWORD
	v_fma_f16 v17, v17, v64, -v41
	;; [unrolled: 6-line block ×3, first 2 shown]
	v_mul_f16_sdwa v36, v19, v67 dst_sel:DWORD dst_unused:UNUSED_PAD src0_sel:WORD_1 src1_sel:DWORD
	v_lshrrev_b32_e32 v70, 16, v42
	v_fma_f16 v36, v19, v39, v36
	v_mul_f16_sdwa v39, v19, v39 dst_sel:DWORD dst_unused:UNUSED_PAD src0_sel:WORD_1 src1_sel:DWORD
	v_fma_f16 v19, v19, v67, -v39
	v_mul_f16_sdwa v39, v20, v70 dst_sel:DWORD dst_unused:UNUSED_PAD src0_sel:WORD_1 src1_sel:DWORD
	s_waitcnt lgkmcnt(0)
	v_lshrrev_b32_e32 v74, 16, v37
	v_fma_f16 v63, v20, v42, v39
	v_mul_f16_sdwa v39, v20, v42 dst_sel:DWORD dst_unused:UNUSED_PAD src0_sel:WORD_1 src1_sel:DWORD
	v_fma_f16 v20, v20, v70, -v39
	v_mul_f16_sdwa v39, v21, v74 dst_sel:DWORD dst_unused:UNUSED_PAD src0_sel:WORD_1 src1_sel:DWORD
	v_lshrrev_b32_e32 v78, 16, v40
	v_fma_f16 v42, v21, v37, v39
	v_mul_f16_sdwa v37, v21, v37 dst_sel:DWORD dst_unused:UNUSED_PAD src0_sel:WORD_1 src1_sel:DWORD
	v_fma_f16 v21, v21, v74, -v37
	v_mul_f16_sdwa v37, v22, v78 dst_sel:DWORD dst_unused:UNUSED_PAD src0_sel:WORD_1 src1_sel:DWORD
	;; [unrolled: 5-line block ×4, first 2 shown]
	v_fma_f16 v78, v24, v38, v22
	v_mul_f16_sdwa v22, v24, v38 dst_sel:DWORD dst_unused:UNUSED_PAD src0_sel:WORD_1 src1_sel:DWORD
	v_fma_f16 v38, v24, v80, -v22
	v_mul_f16_sdwa v22, v25, v73 dst_sel:DWORD dst_unused:UNUSED_PAD src0_sel:WORD_1 src1_sel:DWORD
	v_fma_f16 v79, v25, v29, v22
	v_mul_f16_sdwa v22, v25, v29 dst_sel:DWORD dst_unused:UNUSED_PAD src0_sel:WORD_1 src1_sel:DWORD
	v_fma_f16 v29, v25, v73, -v22
	v_mul_f16_sdwa v22, v26, v72 dst_sel:DWORD dst_unused:UNUSED_PAD src0_sel:WORD_1 src1_sel:DWORD
	v_fma_f16 v80, v26, v30, v22
	v_mul_f16_sdwa v22, v26, v30 dst_sel:DWORD dst_unused:UNUSED_PAD src0_sel:WORD_1 src1_sel:DWORD
	v_lshrrev_b32_e32 v62, 16, v33
	v_fma_f16 v30, v26, v72, -v22
	v_mul_f16_sdwa v22, v27, v71 dst_sel:DWORD dst_unused:UNUSED_PAD src0_sel:WORD_1 src1_sel:DWORD
	v_fma_f16 v72, v27, v46, v22
	v_mul_f16_sdwa v22, v27, v46 dst_sel:DWORD dst_unused:UNUSED_PAD src0_sel:WORD_1 src1_sel:DWORD
	v_sub_f16_e32 v23, v62, v17
	v_sub_f16_e32 v18, v16, v18
	v_lshrrev_b32_e32 v66, 16, v34
	v_fma_f16 v71, v27, v71, -v22
	v_sub_f16_e32 v22, v33, v32
	v_fma_f16 v25, v62, 2.0, -v23
	v_sub_f16_e32 v26, v81, v41
	v_fma_f16 v16, v16, 2.0, -v18
	v_fma_f16 v17, v33, 2.0, -v22
	;; [unrolled: 1-line block ×3, first 2 shown]
	v_sub_f16_e32 v39, v25, v16
	v_sub_f16_e32 v40, v23, v26
	;; [unrolled: 1-line block ×4, first 2 shown]
	v_lshrrev_b32_e32 v75, 16, v31
	v_sub_f16_e32 v24, v17, v24
	v_fma_f16 v33, v25, 2.0, -v39
	v_add_f16_e32 v25, v22, v18
	v_fma_f16 v37, v23, 2.0, -v40
	v_sub_f16_e32 v23, v34, v63
	v_fma_f16 v26, v66, 2.0, -v20
	v_sub_f16_e32 v27, v36, v42
	v_fma_f16 v19, v19, 2.0, -v21
	v_fma_f16 v16, v17, 2.0, -v24
	;; [unrolled: 1-line block ×4, first 2 shown]
	v_sub_f16_e32 v64, v26, v19
	v_add_f16_e32 v19, v23, v21
	v_sub_f16_e32 v70, v20, v27
	v_sub_f16_e32 v21, v31, v74
	;; [unrolled: 1-line block ×4, first 2 shown]
	v_fma_f16 v18, v36, 2.0, -v27
	v_fma_f16 v46, v20, 2.0, -v70
	;; [unrolled: 1-line block ×4, first 2 shown]
	v_sub_f16_e32 v31, v65, v78
	v_fma_f16 v35, v67, 2.0, -v34
	v_sub_f16_e32 v73, v27, v35
	v_sub_f16_e32 v74, v32, v31
	;; [unrolled: 1-line block ×4, first 2 shown]
	v_fma_f16 v63, v27, 2.0, -v73
	v_add_f16_e32 v27, v21, v34
	v_fma_f16 v75, v32, 2.0, -v74
	v_sub_f16_e32 v34, v76, v80
	v_fma_f16 v32, v77, 2.0, -v35
	v_sub_f16_e32 v36, v79, v72
	v_fma_f16 v29, v29, 2.0, -v38
	v_fma_f16 v41, v26, 2.0, -v64
	;; [unrolled: 1-line block ×5, first 2 shown]
	v_sub_f16_e32 v78, v32, v29
	v_sub_f16_e32 v31, v30, v31
	v_fma_f16 v76, v32, 2.0, -v78
	v_add_f16_e32 v32, v34, v38
	v_sub_f16_e32 v77, v35, v36
	v_sub_f16_e32 v18, v22, v18
	v_fma_f16 v29, v30, 2.0, -v31
	v_fma_f16 v30, v34, 2.0, -v32
	;; [unrolled: 1-line block ×3, first 2 shown]
	v_pack_b32_f16 v34, v16, v33
	v_pack_b32_f16 v35, v17, v37
	v_fma_f16 v22, v22, 2.0, -v18
	v_fma_f16 v23, v23, 2.0, -v19
	s_barrier
	ds_write2_b32 v202, v34, v35 offset1:13
	v_pack_b32_f16 v34, v24, v39
	v_pack_b32_f16 v35, v25, v40
	v_sub_f16_e32 v26, v20, v26
	ds_write2_b32 v202, v34, v35 offset0:26 offset1:39
	v_pack_b32_f16 v34, v22, v41
	v_pack_b32_f16 v35, v23, v46
	v_fma_f16 v20, v20, 2.0, -v26
	v_fma_f16 v21, v21, 2.0, -v27
	ds_write2_b32 v222, v34, v35 offset1:13
	v_pack_b32_f16 v34, v18, v64
	v_pack_b32_f16 v35, v19, v70
	ds_write2_b32 v222, v34, v35 offset0:26 offset1:39
	v_pack_b32_f16 v34, v20, v63
	v_pack_b32_f16 v35, v21, v75
	ds_write2_b32 v209, v34, v35 offset1:13
	v_pack_b32_f16 v34, v26, v73
	v_pack_b32_f16 v35, v27, v74
	ds_write2_b32 v209, v34, v35 offset0:26 offset1:39
	s_and_saveexec_b64 s[2:3], vcc
	s_cbranch_execz .LBB0_13
; %bb.12:
	v_mad_legacy_u16 v34, v172, 52, v173
	s_mov_b32 s4, 0x5040100
	v_lshl_add_u32 v34, v34, 2, v171
	v_perm_b32 v35, v76, v29, s4
	v_perm_b32 v36, v71, v30, s4
	ds_write2_b32 v34, v35, v36 offset1:13
	v_perm_b32 v35, v78, v31, s4
	v_perm_b32 v36, v77, v32, s4
	ds_write2_b32 v34, v35, v36 offset0:26 offset1:39
.LBB0_13:
	s_or_b64 exec, exec, s[2:3]
	s_waitcnt lgkmcnt(0)
	s_barrier
	s_and_saveexec_b64 s[2:3], s[0:1]
	s_cbranch_execz .LBB0_15
; %bb.14:
	v_add_u32_e32 v18, 0x200, v49
	v_add_u32_e32 v20, 0x400, v49
	;; [unrolled: 1-line block ×4, first 2 shown]
	ds_read2_b32 v[16:17], v49 offset1:52
	ds_read2_b32 v[24:25], v49 offset0:104 offset1:156
	ds_read2_b32 v[22:23], v18 offset0:80 offset1:132
	;; [unrolled: 1-line block ×7, first 2 shown]
	ds_read_b32 v44, v49 offset:3328
	s_waitcnt lgkmcnt(8)
	v_lshrrev_b32_e32 v33, 16, v16
	v_lshrrev_b32_e32 v37, 16, v17
	s_waitcnt lgkmcnt(7)
	v_lshrrev_b32_e32 v39, 16, v24
	v_lshrrev_b32_e32 v40, 16, v25
	;; [unrolled: 3-line block ×8, first 2 shown]
	s_waitcnt lgkmcnt(0)
	v_lshrrev_b32_e32 v45, 16, v44
.LBB0_15:
	s_or_b64 exec, exec, s[2:3]
	s_and_saveexec_b64 s[2:3], s[0:1]
	s_cbranch_execz .LBB0_17
; %bb.16:
	v_mul_f16_sdwa v34, v8, v37 dst_sel:DWORD dst_unused:UNUSED_PAD src0_sel:WORD_1 src1_sel:DWORD
	v_fma_f16 v36, v8, v17, v34
	v_mul_f16_sdwa v34, v15, v45 dst_sel:DWORD dst_unused:UNUSED_PAD src0_sel:WORD_1 src1_sel:DWORD
	v_fma_f16 v35, v15, v44, v34
	v_mul_f16_sdwa v38, v15, v44 dst_sel:DWORD dst_unused:UNUSED_PAD src0_sel:WORD_1 src1_sel:DWORD
	v_mul_f16_sdwa v17, v8, v17 dst_sel:DWORD dst_unused:UNUSED_PAD src0_sel:WORD_1 src1_sel:DWORD
	v_sub_f16_e32 v34, v36, v35
	v_fma_f16 v15, v15, v45, -v38
	v_fma_f16 v17, v8, v37, -v17
	v_mul_f16_e32 v65, 0xb964, v34
	v_add_f16_e32 v42, v15, v17
	s_movk_i32 s0, 0x39e9
	v_fma_f16 v8, v42, s0, v65
	v_add_f16_e32 v44, v33, v8
	v_mul_f16_sdwa v8, v9, v39 dst_sel:DWORD dst_unused:UNUSED_PAD src0_sel:WORD_1 src1_sel:DWORD
	v_fma_f16 v38, v9, v24, v8
	v_mul_f16_sdwa v8, v14, v77 dst_sel:DWORD dst_unused:UNUSED_PAD src0_sel:WORD_1 src1_sel:DWORD
	v_fma_f16 v37, v14, v32, v8
	v_mul_f16_sdwa v32, v14, v32 dst_sel:DWORD dst_unused:UNUSED_PAD src0_sel:WORD_1 src1_sel:DWORD
	v_mul_f16_sdwa v24, v9, v24 dst_sel:DWORD dst_unused:UNUSED_PAD src0_sel:WORD_1 src1_sel:DWORD
	v_sub_f16_e32 v8, v38, v37
	v_fma_f16 v14, v14, v77, -v32
	v_fma_f16 v24, v9, v39, -v24
	v_mul_f16_e32 v72, 0xbbf7, v8
	v_add_f16_e32 v45, v14, v24
	s_movk_i32 s4, 0x2de8
	v_fma_f16 v9, v45, s4, v72
	v_add_f16_e32 v44, v9, v44
	v_mul_f16_sdwa v9, v10, v40 dst_sel:DWORD dst_unused:UNUSED_PAD src0_sel:WORD_1 src1_sel:DWORD
	v_fma_f16 v39, v10, v25, v9
	v_mul_f16_sdwa v9, v13, v78 dst_sel:DWORD dst_unused:UNUSED_PAD src0_sel:WORD_1 src1_sel:DWORD
	v_fma_f16 v32, v13, v31, v9
	v_mul_f16_sdwa v31, v13, v31 dst_sel:DWORD dst_unused:UNUSED_PAD src0_sel:WORD_1 src1_sel:DWORD
	v_mul_f16_sdwa v25, v10, v25 dst_sel:DWORD dst_unused:UNUSED_PAD src0_sel:WORD_1 src1_sel:DWORD
	v_sub_f16_e32 v9, v39, v32
	v_fma_f16 v13, v13, v78, -v31
	v_fma_f16 v25, v10, v40, -v25
	v_mul_f16_e32 v77, 0xba62, v9
	v_add_f16_e32 v62, v13, v25
	s_mov_b32 s12, 0xb8d2
	v_fma_f16 v10, v62, s12, v77
	v_add_f16_e32 v44, v10, v44
	v_mul_f16_sdwa v10, v11, v41 dst_sel:DWORD dst_unused:UNUSED_PAD src0_sel:WORD_1 src1_sel:DWORD
	v_fma_f16 v40, v11, v22, v10
	v_mul_f16_sdwa v10, v12, v71 dst_sel:DWORD dst_unused:UNUSED_PAD src0_sel:WORD_1 src1_sel:DWORD
	v_fma_f16 v31, v12, v30, v10
	v_mul_f16_sdwa v30, v12, v30 dst_sel:DWORD dst_unused:UNUSED_PAD src0_sel:WORD_1 src1_sel:DWORD
	v_mul_f16_sdwa v22, v11, v22 dst_sel:DWORD dst_unused:UNUSED_PAD src0_sel:WORD_1 src1_sel:DWORD
	v_sub_f16_e32 v10, v40, v31
	v_fma_f16 v12, v12, v71, -v30
	v_fma_f16 v22, v11, v41, -v22
	v_mul_f16_e32 v80, 0xb1e1, v10
	v_add_f16_e32 v71, v12, v22
	s_mov_b32 s14, 0xbbdd
	v_fma_f16 v11, v71, s14, v80
	v_add_f16_e32 v44, v11, v44
	v_mul_f16_sdwa v11, v0, v46 dst_sel:DWORD dst_unused:UNUSED_PAD src0_sel:WORD_1 src1_sel:DWORD
	v_fma_f16 v41, v0, v23, v11
	v_mul_f16_sdwa v11, v7, v76 dst_sel:DWORD dst_unused:UNUSED_PAD src0_sel:WORD_1 src1_sel:DWORD
	v_fma_f16 v30, v7, v29, v11
	v_mul_f16_sdwa v29, v7, v29 dst_sel:DWORD dst_unused:UNUSED_PAD src0_sel:WORD_1 src1_sel:DWORD
	v_fma_f16 v29, v7, v76, -v29
	v_mul_f16_sdwa v7, v0, v23 dst_sel:DWORD dst_unused:UNUSED_PAD src0_sel:WORD_1 src1_sel:DWORD
	v_sub_f16_e32 v11, v41, v30
	v_fma_f16 v23, v0, v46, -v7
	v_mul_f16_e32 v82, 0x3836, v11
	v_add_f16_e32 v76, v29, v23
	s_mov_b32 s16, 0xbacd
	v_mul_f16_sdwa v7, v1, v64 dst_sel:DWORD dst_unused:UNUSED_PAD src0_sel:WORD_1 src1_sel:DWORD
	v_fma_f16 v0, v76, s16, v82
	v_fma_f16 v46, v1, v18, v7
	v_mul_f16_sdwa v7, v6, v74 dst_sel:DWORD dst_unused:UNUSED_PAD src0_sel:WORD_1 src1_sel:DWORD
	v_add_f16_e32 v0, v0, v44
	v_fma_f16 v44, v6, v27, v7
	v_mul_f16_sdwa v27, v6, v27 dst_sel:DWORD dst_unused:UNUSED_PAD src0_sel:WORD_1 src1_sel:DWORD
	v_mul_f16_sdwa v18, v1, v18 dst_sel:DWORD dst_unused:UNUSED_PAD src0_sel:WORD_1 src1_sel:DWORD
	v_sub_f16_e32 v7, v46, v44
	v_fma_f16 v6, v6, v74, -v27
	v_fma_f16 v18, v1, v64, -v18
	v_mul_f16_e32 v88, 0x3bb2, v7
	v_add_f16_e32 v78, v6, v18
	s_mov_b32 s17, 0xb461
	v_fma_f16 v1, v78, s17, v88
	v_add_f16_e32 v0, v1, v0
	v_mul_f16_sdwa v1, v2, v70 dst_sel:DWORD dst_unused:UNUSED_PAD src0_sel:WORD_1 src1_sel:DWORD
	v_fma_f16 v64, v2, v19, v1
	v_mul_f16_sdwa v1, v5, v73 dst_sel:DWORD dst_unused:UNUSED_PAD src0_sel:WORD_1 src1_sel:DWORD
	v_fma_f16 v27, v5, v26, v1
	v_mul_f16_sdwa v26, v5, v26 dst_sel:DWORD dst_unused:UNUSED_PAD src0_sel:WORD_1 src1_sel:DWORD
	v_mul_f16_sdwa v19, v2, v19 dst_sel:DWORD dst_unused:UNUSED_PAD src0_sel:WORD_1 src1_sel:DWORD
	v_sub_f16_e32 v1, v64, v27
	v_fma_f16 v5, v5, v73, -v26
	v_fma_f16 v26, v2, v70, -v19
	v_mul_f16_e32 v94, 0x3b29, v1
	v_add_f16_e32 v81, v5, v26
	s_movk_i32 s18, 0x3722
	v_fma_f16 v2, v81, s18, v94
	v_add_f16_e32 v0, v2, v0
	v_mul_f16_sdwa v2, v3, v63 dst_sel:DWORD dst_unused:UNUSED_PAD src0_sel:WORD_1 src1_sel:DWORD
	v_fma_f16 v73, v3, v20, v2
	v_mul_f16_sdwa v2, v4, v75 dst_sel:DWORD dst_unused:UNUSED_PAD src0_sel:WORD_1 src1_sel:DWORD
	v_mul_f16_sdwa v19, v4, v21 dst_sel:DWORD dst_unused:UNUSED_PAD src0_sel:WORD_1 src1_sel:DWORD
	v_fma_f16 v74, v4, v21, v2
	v_fma_f16 v67, v4, v75, -v19
	v_mul_f16_sdwa v4, v3, v20 dst_sel:DWORD dst_unused:UNUSED_PAD src0_sel:WORD_1 src1_sel:DWORD
	v_sub_f16_e32 v2, v73, v74
	v_fma_f16 v69, v3, v63, -v4
	v_mul_f16_e32 v96, 0x35c8, v2
	v_add_f16_e32 v83, v67, v69
	s_movk_i32 s19, 0x3b76
	v_sub_f16_e32 v84, v17, v15
	v_fma_f16 v3, v83, s19, v96
	v_add_f16_e32 v4, v35, v36
	v_mul_f16_e32 v97, 0xb964, v84
	v_sub_f16_e32 v85, v24, v14
	v_add_f16_e32 v0, v3, v0
	v_fma_f16 v3, v4, s0, -v97
	v_add_f16_e32 v19, v37, v38
	v_mul_f16_e32 v98, 0xbbf7, v85
	v_add_f16_e32 v3, v16, v3
	v_fma_f16 v20, v19, s4, -v98
	v_sub_f16_e32 v86, v25, v13
	v_add_f16_e32 v3, v20, v3
	v_add_f16_e32 v20, v32, v39
	v_mul_f16_e32 v99, 0xba62, v86
	v_fma_f16 v21, v20, s12, -v99
	v_sub_f16_e32 v89, v22, v12
	v_add_f16_e32 v3, v21, v3
	v_add_f16_e32 v21, v31, v40
	v_mul_f16_e32 v100, 0xb1e1, v89
	;; [unrolled: 5-line block ×6, first 2 shown]
	v_fma_f16 v75, v70, s19, -v105
	v_mul_f16_e32 v106, 0xbb29, v34
	v_add_f16_e32 v3, v75, v3
	v_fma_f16 v75, v42, s18, v106
	v_mul_f16_e32 v107, 0xba62, v8
	v_add_f16_e32 v75, v33, v75
	v_fma_f16 v79, v45, s12, v107
	;; [unrolled: 3-line block ×8, first 2 shown]
	v_mul_f16_e32 v114, 0xbb29, v84
	v_add_f16_e32 v75, v79, v75
	v_fma_f16 v79, v4, s18, -v114
	v_mul_f16_e32 v115, 0xba62, v85
	v_add_f16_e32 v79, v16, v79
	v_fma_f16 v87, v19, s12, -v115
	;; [unrolled: 3-line block ×8, first 2 shown]
	v_mul_f16_e32 v122, 0xbbf7, v34
	v_add_f16_e32 v79, v87, v79
	v_fma_f16 v87, v42, s4, v122
	v_mul_f16_e32 v123, 0xb1e1, v8
	v_add_f16_e32 v87, v33, v87
	v_fma_f16 v95, v45, s14, v123
	;; [unrolled: 3-line block ×8, first 2 shown]
	v_mul_f16_e32 v130, 0xbbf7, v84
	v_add_f16_e32 v87, v95, v87
	v_fma_f16 v95, v4, s4, -v130
	v_mul_f16_e32 v131, 0xb1e1, v85
	v_add_f16_e32 v95, v16, v95
	v_fma_f16 v103, v19, s14, -v131
	;; [unrolled: 3-line block ×8, first 2 shown]
	v_mul_f16_e32 v138, 0xbbb2, v34
	v_add_f16_e32 v95, v103, v95
	v_fma_f16 v103, v42, s17, v138
	v_mul_f16_e32 v139, 0x3836, v8
	v_add_f16_e32 v103, v33, v103
	v_fma_f16 v140, v45, s16, v139
	v_add_f16_e32 v103, v140, v103
	v_mul_f16_e32 v140, 0x3964, v9
	v_fma_f16 v141, v62, s0, v140
	v_add_f16_e32 v103, v141, v103
	v_mul_f16_e32 v141, 0xbb29, v10
	;; [unrolled: 3-line block ×7, first 2 shown]
	v_fma_f16 v147, v4, s17, -v146
	v_mul_f16_e32 v148, 0x3836, v85
	v_add_f16_e32 v147, v16, v147
	v_fma_f16 v149, v19, s16, -v148
	v_add_f16_e32 v147, v149, v147
	v_mul_f16_e32 v149, 0x3964, v86
	v_fma_f16 v150, v20, s0, -v149
	v_add_f16_e32 v147, v150, v147
	v_mul_f16_e32 v150, 0xbb29, v89
	;; [unrolled: 3-line block ×7, first 2 shown]
	v_fma_f16 v156, v42, s12, v155
	v_mul_f16_e32 v157, 0x3bb2, v8
	v_add_f16_e32 v156, v33, v156
	v_fma_f16 v158, v45, s17, v157
	v_add_f16_e32 v156, v158, v156
	v_mul_f16_e32 v158, 0xb5c8, v9
	v_fma_f16 v159, v62, s19, v158
	v_add_f16_e32 v156, v159, v156
	v_mul_f16_e32 v159, 0xb836, v10
	;; [unrolled: 3-line block ×7, first 2 shown]
	v_fma_f16 v165, v4, s12, -v164
	v_mul_f16_e32 v166, 0x3bb2, v85
	v_add_f16_e32 v165, v16, v165
	v_fma_f16 v167, v19, s17, -v166
	v_add_f16_e32 v165, v167, v165
	v_mul_f16_e32 v167, 0xb5c8, v86
	v_fma_f16 v168, v20, s19, -v167
	v_add_f16_e32 v165, v168, v165
	v_mul_f16_e32 v168, 0xb836, v89
	;; [unrolled: 3-line block ×7, first 2 shown]
	v_fma_f16 v174, v42, s16, v173
	v_mul_f16_e32 v175, 0x3b29, v8
	v_add_f16_e32 v174, v33, v174
	v_fma_f16 v176, v45, s18, v175
	v_add_f16_e32 v174, v176, v174
	v_mul_f16_e32 v176, 0xbbf7, v9
	v_fma_f16 v177, v62, s4, v176
	v_add_f16_e32 v174, v177, v174
	v_mul_f16_e32 v177, 0x3a62, v10
	;; [unrolled: 3-line block ×7, first 2 shown]
	v_fma_f16 v183, v4, s16, -v182
	v_mul_f16_e32 v184, 0x3b29, v85
	v_add_f16_e32 v183, v16, v183
	v_fma_f16 v185, v19, s18, -v184
	v_add_f16_e32 v183, v185, v183
	v_mul_f16_e32 v185, 0xbbf7, v86
	v_fma_f16 v186, v20, s4, -v185
	v_add_f16_e32 v183, v186, v183
	v_mul_f16_e32 v186, 0x3a62, v89
	v_fma_f16 v65, v42, s0, -v65
	v_fma_f16 v187, v21, s12, -v186
	v_add_f16_e32 v65, v33, v65
	v_fma_f16 v72, v45, s4, -v72
	v_add_f16_e32 v183, v187, v183
	v_mul_f16_e32 v187, 0xb5c8, v90
	v_add_f16_e32 v65, v72, v65
	v_fma_f16 v72, v62, s12, -v77
	v_fma_f16 v188, v63, s19, -v187
	v_add_f16_e32 v65, v72, v65
	v_fma_f16 v72, v71, s14, -v80
	v_add_f16_e32 v183, v188, v183
	v_mul_f16_e32 v188, 0xb1e1, v91
	v_add_f16_e32 v65, v72, v65
	;; [unrolled: 7-line block ×4, first 2 shown]
	v_fma_f16 v72, v4, s0, v97
	v_fma_f16 v191, v70, s17, -v190
	v_add_f16_e32 v72, v16, v72
	v_fma_f16 v77, v19, s4, v98
	v_add_f16_e32 v183, v191, v183
	v_mul_f16_e32 v191, 0xb1e1, v34
	v_add_f16_e32 v72, v77, v72
	v_fma_f16 v77, v20, s12, v99
	v_fma_f16 v192, v42, s14, v191
	v_mul_f16_e32 v193, 0x35c8, v8
	v_add_f16_e32 v72, v77, v72
	v_fma_f16 v77, v21, s14, v100
	v_add_f16_e32 v192, v33, v192
	v_fma_f16 v194, v45, s19, v193
	;; [unrolled: 2-line block ×3, first 2 shown]
	v_add_f16_e32 v192, v194, v192
	v_mul_f16_e32 v194, 0xb836, v9
	v_add_f16_e32 v72, v77, v72
	v_fma_f16 v77, v66, s17, v102
	v_fma_f16 v195, v62, s16, v194
	v_add_f16_e32 v72, v77, v72
	v_fma_f16 v77, v68, s18, v104
	s_movk_i32 s26, 0x35c8
	v_add_f16_e32 v192, v195, v192
	v_mul_f16_e32 v195, 0x3964, v10
	v_fma_f16 v191, v42, s14, -v191
	v_fma_f16 v173, v42, s16, -v173
	;; [unrolled: 1-line block ×6, first 2 shown]
	v_add_f16_e32 v72, v77, v72
	v_fma_f16 v77, v70, s19, v105
	v_mul_f16_e32 v42, 0x3b76, v42
	v_add_f16_e32 v17, v17, v33
	s_movk_i32 s28, 0x3964
	v_fma_f16 v196, v71, s0, v195
	v_add_f16_e32 v191, v33, v191
	v_fma_f16 v193, v45, s19, -v193
	v_add_f16_e32 v173, v33, v173
	v_fma_f16 v175, v45, s18, -v175
	;; [unrolled: 2-line block ×6, first 2 shown]
	v_add_f16_e32 v72, v77, v72
	v_fma_f16 v77, v34, s26, v42
	v_mul_f16_e32 v45, 0x39e9, v45
	v_add_f16_e32 v17, v24, v17
	s_movk_i32 s23, 0x3b29
	v_add_f16_e32 v192, v196, v192
	v_mul_f16_e32 v196, 0xba62, v11
	v_add_f16_e32 v191, v193, v191
	v_fma_f16 v193, v62, s16, -v194
	v_add_f16_e32 v173, v175, v173
	v_fma_f16 v175, v62, s4, -v176
	;; [unrolled: 2-line block ×6, first 2 shown]
	v_add_f16_e32 v77, v33, v77
	v_fma_f16 v80, v8, s28, v45
	v_mul_f16_e32 v62, 0x3722, v62
	v_add_f16_e32 v17, v25, v17
	s_movk_i32 s31, 0x3bf7
	v_fma_f16 v197, v76, s12, v196
	v_add_f16_e32 v191, v193, v191
	v_fma_f16 v193, v71, s0, -v195
	v_add_f16_e32 v173, v175, v173
	v_fma_f16 v175, v71, s12, -v177
	;; [unrolled: 2-line block ×6, first 2 shown]
	v_add_f16_e32 v77, v80, v77
	v_fma_f16 v80, v9, s23, v62
	v_mul_f16_e32 v71, 0x2de8, v71
	v_add_f16_e32 v17, v22, v17
	s_movk_i32 s21, 0x3bb2
	v_add_f16_e32 v192, v197, v192
	v_mul_f16_e32 v197, 0x3b29, v7
	v_add_f16_e32 v191, v193, v191
	v_fma_f16 v193, v76, s12, -v196
	v_add_f16_e32 v173, v175, v173
	v_fma_f16 v175, v76, s19, -v178
	;; [unrolled: 2-line block ×6, first 2 shown]
	v_add_f16_e32 v77, v80, v77
	v_fma_f16 v80, v10, s31, v71
	v_mul_f16_e32 v76, 0xb461, v76
	v_add_f16_e32 v17, v23, v17
	s_movk_i32 s30, 0x3a62
	v_fma_f16 v198, v78, s18, v197
	v_add_f16_e32 v191, v193, v191
	v_fma_f16 v193, v78, s18, -v197
	v_add_f16_e32 v173, v175, v173
	v_fma_f16 v175, v78, s14, -v179
	v_add_f16_e32 v155, v157, v155
	v_fma_f16 v157, v78, s0, -v161
	v_add_f16_e32 v138, v139, v138
	v_fma_f16 v139, v78, s4, -v143
	v_add_f16_e32 v122, v123, v122
	v_fma_f16 v123, v78, s16, -v127
	v_add_f16_e32 v106, v107, v106
	v_fma_f16 v107, v78, s19, -v111
	v_add_f16_e32 v77, v80, v77
	v_fma_f16 v80, v11, s21, v76
	v_mul_f16_e32 v78, 0xb8d2, v78
	v_add_f16_e32 v17, v18, v17
	v_add_f16_e32 v77, v80, v77
	v_fma_f16 v80, v7, s30, v78
	v_add_f16_e32 v17, v26, v17
	s_movk_i32 s20, 0x3836
	v_add_f16_e32 v192, v198, v192
	v_mul_f16_e32 v198, 0xbbb2, v1
	v_add_f16_e32 v77, v80, v77
	v_mul_f16_e32 v80, 0xbacd, v81
	v_add_f16_e32 v17, v69, v17
	v_fma_f16 v199, v81, s17, v198
	v_add_f16_e32 v191, v193, v191
	v_fma_f16 v193, v81, s17, -v198
	v_add_f16_e32 v173, v175, v173
	v_fma_f16 v175, v81, s0, -v180
	;; [unrolled: 2-line block ×6, first 2 shown]
	v_fma_f16 v81, v1, s20, v80
	v_add_f16_e32 v17, v67, v17
	s_movk_i32 s27, 0x31e1
	s_mov_b32 s25, 0xb5c8
	v_add_f16_e32 v77, v81, v77
	v_mul_f16_e32 v81, 0xbbdd, v83
	v_add_f16_e32 v5, v5, v17
	s_mov_b32 s1, 0xb964
	v_add_f16_e32 v192, v199, v192
	v_mul_f16_e32 v199, 0x3bf7, v2
	v_fma_f16 v82, v2, s27, v81
	v_add_f16_e32 v36, v16, v36
	v_add_f16_e32 v5, v6, v5
	v_fma_f16 v6, v34, s25, v42
	s_mov_b32 s22, 0xbb29
	v_fma_f16 v200, v83, s4, v199
	v_add_f16_e32 v77, v82, v77
	v_mul_f16_e32 v82, 0xb5c8, v84
	v_add_f16_e32 v36, v38, v36
	v_add_f16_e32 v6, v33, v6
	v_fma_f16 v8, v8, s1, v45
	s_mov_b32 s5, 0xbbf7
	v_add_f16_e32 v192, v200, v192
	v_mul_f16_e32 v200, 0xb1e1, v84
	v_add_f16_e32 v191, v193, v191
	v_fma_f16 v193, v83, s4, -v199
	v_add_f16_e32 v173, v175, v173
	v_fma_f16 v175, v83, s17, -v181
	;; [unrolled: 2-line block ×6, first 2 shown]
	v_fma_f16 v83, v4, s19, v82
	v_mul_f16_e32 v84, 0xb964, v85
	v_add_f16_e32 v36, v39, v36
	v_add_f16_e32 v6, v8, v6
	v_fma_f16 v8, v9, s22, v62
	s_mov_b32 s29, 0xbbb2
	v_fma_f16 v201, v4, s14, -v200
	v_mul_f16_e32 v202, 0x35c8, v85
	v_add_f16_e32 v83, v16, v83
	v_fma_f16 v85, v19, s0, v84
	v_add_f16_e32 v36, v40, v36
	v_add_f16_e32 v6, v8, v6
	v_fma_f16 v8, v10, s5, v71
	s_mov_b32 s13, 0xba62
	v_add_f16_e32 v201, v16, v201
	v_fma_f16 v203, v19, s19, -v202
	v_add_f16_e32 v83, v85, v83
	v_mul_f16_e32 v85, 0xbb29, v86
	v_add_f16_e32 v36, v41, v36
	v_add_f16_e32 v6, v8, v6
	v_fma_f16 v8, v11, s29, v76
	s_mov_b32 s24, 0xb836
	v_add_f16_e32 v201, v203, v201
	v_mul_f16_e32 v203, 0xb836, v86
	v_fma_f16 v86, v20, s18, v85
	v_add_f16_e32 v36, v46, v36
	v_add_f16_e32 v6, v8, v6
	v_fma_f16 v7, v7, s13, v78
	s_mov_b32 s15, 0xb1e1
	v_add_f16_e32 v83, v86, v83
	v_mul_f16_e32 v86, 0xbbf7, v89
	v_add_f16_e32 v36, v64, v36
	v_add_f16_e32 v6, v7, v6
	v_fma_f16 v1, v1, s24, v80
	v_fma_f16 v88, v21, s4, v86
	v_add_f16_e32 v36, v73, v36
	v_add_f16_e32 v1, v1, v6
	v_fma_f16 v2, v2, s15, v81
	v_fma_f16 v204, v20, s16, -v203
	v_add_f16_e32 v83, v88, v83
	v_mul_f16_e32 v88, 0xbbb2, v90
	v_add_f16_e32 v36, v74, v36
	v_add_f16_e32 v1, v2, v1
	v_fma_f16 v2, v4, s19, -v82
	v_add_f16_e32 v201, v204, v201
	v_mul_f16_e32 v204, 0x3964, v89
	v_add_f16_e32 v191, v193, v191
	v_fma_f16 v193, v4, s14, v200
	v_add_f16_e32 v173, v175, v173
	v_fma_f16 v175, v4, s16, v182
	;; [unrolled: 2-line block ×6, first 2 shown]
	v_fma_f16 v89, v63, s17, v88
	v_add_f16_e32 v27, v27, v36
	v_add_f16_e32 v2, v16, v2
	v_fma_f16 v4, v19, s0, -v84
	v_fma_f16 v205, v21, s0, -v204
	v_add_f16_e32 v123, v16, v123
	v_fma_f16 v124, v19, s14, v131
	v_add_f16_e32 v107, v16, v107
	v_fma_f16 v108, v19, s12, v115
	v_add_f16_e32 v83, v89, v83
	v_mul_f16_e32 v89, 0xba62, v91
	v_add_f16_e32 v27, v44, v27
	v_add_f16_e32 v2, v4, v2
	v_fma_f16 v4, v20, s18, -v85
	v_add_f16_e32 v201, v205, v201
	v_mul_f16_e32 v205, 0xba62, v90
	v_add_f16_e32 v157, v16, v157
	v_fma_f16 v158, v19, s17, v166
	v_add_f16_e32 v139, v16, v139
	v_fma_f16 v140, v19, s16, v148
	;; [unrolled: 2-line block ×4, first 2 shown]
	v_fma_f16 v90, v66, s12, v89
	v_add_f16_e32 v27, v30, v27
	v_add_f16_e32 v5, v29, v5
	;; [unrolled: 1-line block ×3, first 2 shown]
	v_fma_f16 v4, v21, s4, -v86
	v_fma_f16 v206, v63, s12, -v205
	v_add_f16_e32 v193, v16, v193
	v_fma_f16 v194, v19, s19, v202
	v_add_f16_e32 v175, v16, v175
	v_fma_f16 v176, v19, s18, v184
	;; [unrolled: 2-line block ×6, first 2 shown]
	v_add_f16_e32 v83, v90, v83
	v_mul_f16_e32 v90, 0xb836, v92
	v_add_f16_e32 v27, v31, v27
	v_add_f16_e32 v5, v12, v5
	;; [unrolled: 1-line block ×3, first 2 shown]
	v_fma_f16 v4, v63, s17, -v88
	v_add_f16_e32 v201, v206, v201
	v_mul_f16_e32 v206, 0x3b29, v91
	v_add_f16_e32 v193, v194, v193
	v_fma_f16 v194, v20, s16, v203
	v_add_f16_e32 v175, v176, v175
	v_fma_f16 v176, v20, s4, v185
	;; [unrolled: 2-line block ×6, first 2 shown]
	v_fma_f16 v91, v68, s16, v90
	v_add_f16_e32 v27, v32, v27
	v_add_f16_e32 v5, v13, v5
	v_add_f16_e32 v2, v4, v2
	v_fma_f16 v4, v66, s12, -v89
	v_fma_f16 v207, v66, s18, -v206
	v_add_f16_e32 v193, v194, v193
	v_fma_f16 v194, v21, s0, v204
	v_add_f16_e32 v175, v176, v175
	v_fma_f16 v176, v21, s12, v186
	;; [unrolled: 2-line block ×6, first 2 shown]
	v_add_f16_e32 v83, v91, v83
	v_mul_f16_e32 v91, 0xb1e1, v93
	v_add_f16_e32 v27, v37, v27
	v_add_f16_e32 v5, v14, v5
	;; [unrolled: 1-line block ×3, first 2 shown]
	v_fma_f16 v4, v68, s16, -v90
	v_add_f16_e32 v201, v207, v201
	v_mul_f16_e32 v207, 0xbbb2, v92
	v_add_f16_e32 v193, v194, v193
	v_fma_f16 v194, v63, s12, v205
	v_add_f16_e32 v175, v176, v175
	v_fma_f16 v176, v63, s19, v187
	;; [unrolled: 2-line block ×6, first 2 shown]
	v_fma_f16 v92, v70, s14, v91
	v_add_f16_e32 v27, v35, v27
	v_add_f16_e32 v5, v15, v5
	;; [unrolled: 1-line block ×3, first 2 shown]
	v_fma_f16 v4, v70, s14, -v91
	v_fma_f16 v208, v68, s17, -v207
	v_add_f16_e32 v193, v194, v193
	v_fma_f16 v194, v66, s18, v206
	v_add_f16_e32 v175, v176, v175
	v_fma_f16 v176, v66, s14, v188
	;; [unrolled: 2-line block ×6, first 2 shown]
	v_add_f16_e32 v83, v92, v83
	v_add_f16_e32 v2, v4, v2
	v_pack_b32_f16 v4, v27, v5
	v_add_f16_e32 v201, v208, v201
	v_mul_f16_e32 v208, 0x3bf7, v93
	v_add_f16_e32 v193, v194, v193
	v_fma_f16 v194, v68, s17, v207
	v_add_f16_e32 v175, v176, v175
	v_fma_f16 v176, v68, s0, v189
	;; [unrolled: 2-line block ×4, first 2 shown]
	v_add_f16_e32 v123, v124, v123
	v_add_f16_e32 v107, v108, v107
	ds_write_b32 v49, v4
	v_pack_b32_f16 v4, v83, v77
	v_pack_b32_f16 v5, v72, v65
	v_add_f16_e32 v193, v194, v193
	v_fma_f16 v194, v70, s4, v208
	v_add_f16_e32 v175, v176, v175
	v_fma_f16 v176, v70, s17, v190
	v_add_f16_e32 v157, v158, v157
	v_add_f16_e32 v139, v140, v139
	ds_write2_b32 v43, v4, v5 offset0:52 offset1:104
	v_pack_b32_f16 v4, v107, v106
	v_pack_b32_f16 v5, v123, v122
	v_fma_f16 v209, v70, s4, -v208
	v_add_f16_e32 v193, v194, v193
	v_add_f16_e32 v175, v176, v175
	ds_write2_b32 v43, v4, v5 offset0:156 offset1:208
	v_pack_b32_f16 v4, v139, v138
	v_pack_b32_f16 v5, v157, v155
	v_add_u32_e32 v6, 0x400, v43
	v_add_f16_e32 v201, v209, v201
	ds_write2_b32 v6, v4, v5 offset0:4 offset1:56
	v_pack_b32_f16 v4, v175, v173
	v_pack_b32_f16 v5, v193, v191
	ds_write2_b32 v6, v4, v5 offset0:108 offset1:160
	v_pack_b32_f16 v4, v201, v192
	v_pack_b32_f16 v5, v183, v174
	v_add_u32_e32 v6, 0x600, v43
	ds_write2_b32 v6, v4, v5 offset0:84 offset1:136
	v_pack_b32_f16 v4, v165, v156
	v_pack_b32_f16 v5, v147, v103
	v_add_u32_e32 v6, 0x800, v43
	ds_write2_b32 v6, v4, v5 offset0:60 offset1:112
	v_pack_b32_f16 v4, v95, v87
	v_pack_b32_f16 v5, v79, v75
	;; [unrolled: 1-line block ×4, first 2 shown]
	v_add_u32_e32 v2, 0xc00, v43
	ds_write2_b32 v6, v4, v5 offset0:164 offset1:216
	ds_write2_b32 v2, v0, v1 offset0:12 offset1:64
.LBB0_17:
	s_or_b64 exec, exec, s[2:3]
	s_waitcnt lgkmcnt(0)
	s_barrier
	ds_read2_b32 v[0:1], v49 offset1:68
	s_mov_b32 s2, 0x1288b013
	s_mov_b32 s3, 0x3f5288b0
	v_mad_u64_u32 v[4:5], s[0:1], s10, v28, 0
	s_waitcnt lgkmcnt(0)
	v_lshrrev_b32_e32 v7, 16, v0
	v_mul_f16_sdwa v2, v61, v7 dst_sel:DWORD dst_unused:UNUSED_PAD src0_sel:WORD_1 src1_sel:DWORD
	v_fma_f16 v2, v61, v0, v2
	v_cvt_f32_f16_e32 v2, v2
	s_movk_i32 s4, 0x1ff
	v_mad_u64_u32 v[5:6], s[0:1], s11, v28, v[5:6]
	v_cvt_f64_f32_e32 v[2:3], v2
	s_movk_i32 s5, 0xffe
	v_mul_f16_sdwa v0, v61, v0 dst_sel:DWORD dst_unused:UNUSED_PAD src0_sel:WORD_1 src1_sel:DWORD
	v_fma_f16 v0, v61, v7, -v0
	v_mul_f64 v[2:3], v[2:3], s[2:3]
	v_cvt_f32_f16_e32 v7, v0
	v_mov_b32_e32 v0, 0x7c00
	s_movk_i32 s10, 0x40f
	s_mov_b32 s11, 0x8000
	v_lshrrev_b32_e32 v11, 16, v1
	v_and_or_b32 v2, v3, s4, v2
	v_cmp_ne_u32_e32 vcc, 0, v2
	v_lshrrev_b32_e32 v6, 8, v3
	v_bfe_u32 v8, v3, 20, 11
	v_cndmask_b32_e64 v2, 0, 1, vcc
	v_sub_u32_e32 v9, 0x3f1, v8
	v_and_or_b32 v2, v6, s5, v2
	v_or_b32_e32 v6, 0x1000, v2
	v_med3_i32 v9, v9, 0, 13
	v_lshrrev_b32_e32 v10, v9, v6
	v_lshlrev_b32_e32 v9, v9, v10
	v_cmp_ne_u32_e32 vcc, v9, v6
	v_cndmask_b32_e64 v6, 0, 1, vcc
	v_add_u32_e32 v8, 0xfffffc10, v8
	v_or_b32_e32 v6, v10, v6
	v_lshl_or_b32 v9, v8, 12, v2
	v_cmp_gt_i32_e32 vcc, 1, v8
	v_cndmask_b32_e32 v6, v9, v6, vcc
	v_and_b32_e32 v9, 7, v6
	v_cmp_lt_i32_e32 vcc, 5, v9
	v_cmp_eq_u32_e64 s[0:1], 3, v9
	v_lshrrev_b32_e32 v6, 2, v6
	s_or_b64 vcc, s[0:1], vcc
	v_addc_co_u32_e32 v9, vcc, 0, v6, vcc
	v_cvt_f64_f32_e32 v[6:7], v7
	v_cmp_gt_i32_e32 vcc, 31, v8
	v_cndmask_b32_e32 v9, v0, v9, vcc
	v_cmp_ne_u32_e32 vcc, 0, v2
	v_mul_f64 v[6:7], v[6:7], s[2:3]
	v_cndmask_b32_e64 v2, 0, 1, vcc
	v_lshl_or_b32 v2, v2, 9, v0
	v_cmp_eq_u32_e32 vcc, s10, v8
	v_cndmask_b32_e32 v2, v9, v2, vcc
	v_lshrrev_b32_e32 v3, 16, v3
	v_and_or_b32 v8, v3, s11, v2
	v_and_b32_e32 v8, 0xffff, v8
	v_and_or_b32 v2, v7, s4, v6
	v_cmp_ne_u32_e32 vcc, 0, v2
	v_cndmask_b32_e64 v2, 0, 1, vcc
	v_lshrrev_b32_e32 v3, 8, v7
	v_bfe_u32 v6, v7, 20, 11
	v_and_or_b32 v2, v3, s5, v2
	v_sub_u32_e32 v9, 0x3f1, v6
	v_or_b32_e32 v3, 0x1000, v2
	v_med3_i32 v9, v9, 0, 13
	v_lshrrev_b32_e32 v10, v9, v3
	v_lshlrev_b32_e32 v9, v9, v10
	v_cmp_ne_u32_e32 vcc, v9, v3
	v_cndmask_b32_e64 v3, 0, 1, vcc
	v_add_u32_e32 v6, 0xfffffc10, v6
	v_or_b32_e32 v3, v10, v3
	v_lshl_or_b32 v9, v6, 12, v2
	v_cmp_gt_i32_e32 vcc, 1, v6
	v_cndmask_b32_e32 v3, v9, v3, vcc
	v_and_b32_e32 v9, 7, v3
	v_cmp_lt_i32_e32 vcc, 5, v9
	v_cmp_eq_u32_e64 s[0:1], 3, v9
	v_lshrrev_b32_e32 v3, 2, v3
	s_or_b64 vcc, s[0:1], vcc
	v_addc_co_u32_e32 v3, vcc, 0, v3, vcc
	v_cmp_gt_i32_e32 vcc, 31, v6
	v_cndmask_b32_e32 v9, v0, v3, vcc
	v_cmp_ne_u32_e32 vcc, 0, v2
	v_cndmask_b32_e64 v2, 0, 1, vcc
	v_lshl_or_b32 v10, v2, 9, v0
	v_mad_u64_u32 v[2:3], s[0:1], s8, v59, 0
	v_cmp_eq_u32_e32 vcc, s10, v6
	v_cndmask_b32_e32 v9, v9, v10, vcc
	v_lshrrev_b32_e32 v10, 16, v7
	v_mad_u64_u32 v[6:7], s[0:1], s9, v59, v[3:4]
	v_mul_f16_sdwa v3, v60, v11 dst_sel:DWORD dst_unused:UNUSED_PAD src0_sel:WORD_1 src1_sel:DWORD
	v_fma_f16 v3, v60, v1, v3
	v_cvt_f32_f16_e32 v7, v3
	v_mov_b32_e32 v3, v6
	v_lshlrev_b64 v[4:5], 2, v[4:5]
	v_and_or_b32 v9, v10, s11, v9
	v_cvt_f64_f32_e32 v[6:7], v7
	v_lshl_or_b32 v8, v9, 16, v8
	v_mov_b32_e32 v9, s7
	v_add_co_u32_e32 v4, vcc, s6, v4
	v_mul_f64 v[6:7], v[6:7], s[2:3]
	v_lshlrev_b64 v[2:3], 2, v[2:3]
	v_addc_co_u32_e32 v5, vcc, v9, v5, vcc
	v_add_co_u32_e32 v2, vcc, v4, v2
	v_addc_co_u32_e32 v3, vcc, v5, v3, vcc
	v_and_or_b32 v4, v7, s4, v6
	v_cmp_ne_u32_e32 vcc, 0, v4
	v_cndmask_b32_e64 v4, 0, 1, vcc
	v_lshrrev_b32_e32 v5, 8, v7
	v_and_or_b32 v6, v5, s5, v4
	v_bfe_u32 v5, v7, 20, 11
	global_store_dword v[2:3], v8, off
	v_sub_u32_e32 v8, 0x3f1, v5
	v_or_b32_e32 v4, 0x1000, v6
	v_med3_i32 v8, v8, 0, 13
	v_lshrrev_b32_e32 v9, v8, v4
	v_lshlrev_b32_e32 v8, v8, v9
	v_mul_f16_sdwa v1, v60, v1 dst_sel:DWORD dst_unused:UNUSED_PAD src0_sel:WORD_1 src1_sel:DWORD
	v_cmp_ne_u32_e32 vcc, v8, v4
	v_fma_f16 v1, v60, v11, -v1
	v_cndmask_b32_e64 v4, 0, 1, vcc
	v_add_u32_e32 v8, 0xfffffc10, v5
	v_cvt_f32_f16_e32 v1, v1
	v_or_b32_e32 v4, v9, v4
	v_lshl_or_b32 v5, v8, 12, v6
	v_cmp_gt_i32_e32 vcc, 1, v8
	v_cndmask_b32_e32 v4, v5, v4, vcc
	v_and_b32_e32 v5, 7, v4
	v_cmp_lt_i32_e32 vcc, 5, v5
	v_cmp_eq_u32_e64 s[0:1], 3, v5
	v_lshrrev_b32_e32 v9, 2, v4
	v_cvt_f64_f32_e32 v[4:5], v1
	s_or_b64 vcc, s[0:1], vcc
	v_addc_co_u32_e32 v1, vcc, 0, v9, vcc
	v_mul_f64 v[4:5], v[4:5], s[2:3]
	v_cmp_gt_i32_e32 vcc, 31, v8
	v_cndmask_b32_e32 v1, v0, v1, vcc
	v_cmp_ne_u32_e32 vcc, 0, v6
	v_cndmask_b32_e64 v6, 0, 1, vcc
	v_lshl_or_b32 v6, v6, 9, v0
	v_cmp_eq_u32_e32 vcc, s10, v8
	v_cndmask_b32_e32 v1, v1, v6, vcc
	v_and_or_b32 v4, v5, s4, v4
	v_lshrrev_b32_e32 v6, 16, v7
	v_cmp_ne_u32_e32 vcc, 0, v4
	v_and_or_b32 v1, v6, s11, v1
	v_cndmask_b32_e64 v4, 0, 1, vcc
	v_lshrrev_b32_e32 v6, 8, v5
	v_bfe_u32 v7, v5, 20, 11
	v_and_or_b32 v4, v6, s5, v4
	v_sub_u32_e32 v8, 0x3f1, v7
	v_or_b32_e32 v6, 0x1000, v4
	v_med3_i32 v8, v8, 0, 13
	v_lshrrev_b32_e32 v9, v8, v6
	v_lshlrev_b32_e32 v8, v8, v9
	v_cmp_ne_u32_e32 vcc, v8, v6
	v_cndmask_b32_e64 v6, 0, 1, vcc
	v_add_u32_e32 v8, 0xfffffc10, v7
	v_or_b32_e32 v6, v9, v6
	v_lshl_or_b32 v7, v8, 12, v4
	v_cmp_gt_i32_e32 vcc, 1, v8
	v_cndmask_b32_e32 v6, v7, v6, vcc
	v_and_b32_e32 v7, 7, v6
	v_cmp_lt_i32_e32 vcc, 5, v7
	v_cmp_eq_u32_e64 s[0:1], 3, v7
	v_lshrrev_b32_e32 v6, 2, v6
	s_or_b64 vcc, s[0:1], vcc
	v_addc_co_u32_e32 v6, vcc, 0, v6, vcc
	v_cmp_gt_i32_e32 vcc, 31, v8
	v_cndmask_b32_e32 v9, v0, v6, vcc
	v_add_u32_e32 v6, 0x200, v49
	ds_read2_b32 v[6:7], v6 offset0:8 offset1:144
	v_cmp_ne_u32_e32 vcc, 0, v4
	v_cndmask_b32_e64 v4, 0, 1, vcc
	v_lshl_or_b32 v4, v4, 9, v0
	v_cmp_eq_u32_e32 vcc, s10, v8
	s_waitcnt lgkmcnt(0)
	v_lshrrev_b32_e32 v8, 16, v6
	v_cndmask_b32_e32 v4, v9, v4, vcc
	v_mul_f16_sdwa v9, v58, v8 dst_sel:DWORD dst_unused:UNUSED_PAD src0_sel:WORD_1 src1_sel:DWORD
	v_fma_f16 v9, v58, v6, v9
	v_cvt_f32_f16_e32 v9, v9
	v_lshrrev_b32_e32 v5, 16, v5
	v_and_or_b32 v4, v5, s11, v4
	v_and_b32_e32 v1, 0xffff, v1
	v_lshl_or_b32 v10, v4, 16, v1
	v_cvt_f64_f32_e32 v[4:5], v9
	s_mul_i32 s0, s9, 0x110
	s_mul_hi_u32 s6, s8, 0x110
	s_add_i32 s6, s6, s0
	v_mul_f64 v[4:5], v[4:5], s[2:3]
	s_mul_i32 s7, s8, 0x110
	v_mov_b32_e32 v9, s6
	v_add_co_u32_e32 v1, vcc, s7, v2
	v_addc_co_u32_e32 v2, vcc, v3, v9, vcc
	global_store_dword v[1:2], v10, off
	v_and_or_b32 v3, v5, s4, v4
	v_cmp_ne_u32_e32 vcc, 0, v3
	v_cndmask_b32_e64 v3, 0, 1, vcc
	v_lshrrev_b32_e32 v4, 8, v5
	v_and_or_b32 v9, v4, s5, v3
	v_bfe_u32 v4, v5, 20, 11
	v_sub_u32_e32 v10, 0x3f1, v4
	v_or_b32_e32 v3, 0x1000, v9
	v_med3_i32 v10, v10, 0, 13
	v_lshrrev_b32_e32 v11, v10, v3
	v_lshlrev_b32_e32 v10, v10, v11
	v_mul_f16_sdwa v6, v58, v6 dst_sel:DWORD dst_unused:UNUSED_PAD src0_sel:WORD_1 src1_sel:DWORD
	v_cmp_ne_u32_e32 vcc, v10, v3
	v_fma_f16 v6, v58, v8, -v6
	v_cndmask_b32_e64 v3, 0, 1, vcc
	v_add_u32_e32 v10, 0xfffffc10, v4
	v_cvt_f32_f16_e32 v6, v6
	v_or_b32_e32 v3, v11, v3
	v_lshl_or_b32 v4, v10, 12, v9
	v_cmp_gt_i32_e32 vcc, 1, v10
	v_cndmask_b32_e32 v3, v4, v3, vcc
	v_and_b32_e32 v4, 7, v3
	v_cmp_lt_i32_e32 vcc, 5, v4
	v_cmp_eq_u32_e64 s[0:1], 3, v4
	v_lshrrev_b32_e32 v8, 2, v3
	v_cvt_f64_f32_e32 v[3:4], v6
	s_or_b64 vcc, s[0:1], vcc
	v_addc_co_u32_e32 v6, vcc, 0, v8, vcc
	v_mul_f64 v[3:4], v[3:4], s[2:3]
	v_cmp_gt_i32_e32 vcc, 31, v10
	v_cndmask_b32_e32 v6, v0, v6, vcc
	v_cmp_ne_u32_e32 vcc, 0, v9
	v_cndmask_b32_e64 v8, 0, 1, vcc
	v_lshl_or_b32 v8, v8, 9, v0
	v_cmp_eq_u32_e32 vcc, s10, v10
	v_cndmask_b32_e32 v6, v6, v8, vcc
	v_and_or_b32 v3, v4, s4, v3
	v_lshrrev_b32_e32 v5, 16, v5
	v_cmp_ne_u32_e32 vcc, 0, v3
	v_and_or_b32 v8, v5, s11, v6
	v_cndmask_b32_e64 v3, 0, 1, vcc
	v_lshrrev_b32_e32 v5, 8, v4
	v_bfe_u32 v6, v4, 20, 11
	v_and_or_b32 v3, v5, s5, v3
	v_sub_u32_e32 v9, 0x3f1, v6
	v_or_b32_e32 v5, 0x1000, v3
	v_med3_i32 v9, v9, 0, 13
	v_lshrrev_b32_e32 v10, v9, v5
	v_lshlrev_b32_e32 v9, v9, v10
	v_cmp_ne_u32_e32 vcc, v9, v5
	v_cndmask_b32_e64 v5, 0, 1, vcc
	v_add_u32_e32 v6, 0xfffffc10, v6
	v_or_b32_e32 v5, v10, v5
	v_lshl_or_b32 v9, v6, 12, v3
	v_cmp_gt_i32_e32 vcc, 1, v6
	v_cndmask_b32_e32 v5, v9, v5, vcc
	v_and_b32_e32 v9, 7, v5
	v_cmp_lt_i32_e32 vcc, 5, v9
	v_cmp_eq_u32_e64 s[0:1], 3, v9
	ds_read_b32 v9, v43 offset:816
	v_lshrrev_b32_e32 v5, 2, v5
	s_or_b64 vcc, s[0:1], vcc
	v_addc_co_u32_e32 v5, vcc, 0, v5, vcc
	s_waitcnt lgkmcnt(0)
	v_lshrrev_b32_e32 v10, 16, v9
	v_mul_f16_sdwa v11, v57, v10 dst_sel:DWORD dst_unused:UNUSED_PAD src0_sel:WORD_1 src1_sel:DWORD
	v_fma_f16 v11, v57, v9, v11
	v_cmp_gt_i32_e32 vcc, 31, v6
	v_cvt_f32_f16_e32 v11, v11
	v_cndmask_b32_e32 v5, v0, v5, vcc
	v_cmp_ne_u32_e32 vcc, 0, v3
	v_cndmask_b32_e64 v3, 0, 1, vcc
	v_lshl_or_b32 v3, v3, 9, v0
	v_cmp_eq_u32_e32 vcc, s10, v6
	v_cndmask_b32_e32 v3, v5, v3, vcc
	v_cvt_f64_f32_e32 v[5:6], v11
	v_lshrrev_b32_e32 v4, 16, v4
	v_and_or_b32 v11, v4, s11, v3
	v_add_co_u32_e32 v1, vcc, s7, v1
	v_mul_f64 v[3:4], v[5:6], s[2:3]
	v_mov_b32_e32 v6, s6
	v_and_b32_e32 v8, 0xffff, v8
	v_addc_co_u32_e32 v2, vcc, v2, v6, vcc
	v_lshl_or_b32 v5, v11, 16, v8
	global_store_dword v[1:2], v5, off
	v_mul_f16_sdwa v9, v57, v9 dst_sel:DWORD dst_unused:UNUSED_PAD src0_sel:WORD_1 src1_sel:DWORD
	v_and_or_b32 v3, v4, s4, v3
	v_cmp_ne_u32_e32 vcc, 0, v3
	v_cndmask_b32_e64 v3, 0, 1, vcc
	v_lshrrev_b32_e32 v5, 8, v4
	v_bfe_u32 v6, v4, 20, 11
	v_and_or_b32 v3, v5, s5, v3
	v_sub_u32_e32 v8, 0x3f1, v6
	v_or_b32_e32 v5, 0x1000, v3
	v_med3_i32 v8, v8, 0, 13
	v_lshrrev_b32_e32 v11, v8, v5
	v_lshlrev_b32_e32 v8, v8, v11
	v_cmp_ne_u32_e32 vcc, v8, v5
	v_fma_f16 v9, v57, v10, -v9
	v_cndmask_b32_e64 v5, 0, 1, vcc
	v_add_u32_e32 v8, 0xfffffc10, v6
	v_cvt_f32_f16_e32 v9, v9
	v_or_b32_e32 v5, v11, v5
	v_lshl_or_b32 v6, v8, 12, v3
	v_cmp_gt_i32_e32 vcc, 1, v8
	v_cndmask_b32_e32 v5, v6, v5, vcc
	v_and_b32_e32 v6, 7, v5
	v_cmp_lt_i32_e32 vcc, 5, v6
	v_cmp_eq_u32_e64 s[0:1], 3, v6
	v_lshrrev_b32_e32 v10, 2, v5
	v_cvt_f64_f32_e32 v[5:6], v9
	s_or_b64 vcc, s[0:1], vcc
	v_addc_co_u32_e32 v9, vcc, 0, v10, vcc
	v_mul_f64 v[5:6], v[5:6], s[2:3]
	v_cmp_gt_i32_e32 vcc, 31, v8
	v_cndmask_b32_e32 v9, v0, v9, vcc
	v_cmp_ne_u32_e32 vcc, 0, v3
	v_cndmask_b32_e64 v3, 0, 1, vcc
	v_lshl_or_b32 v3, v3, 9, v0
	v_cmp_eq_u32_e32 vcc, s10, v8
	v_cndmask_b32_e32 v3, v9, v3, vcc
	v_lshrrev_b32_e32 v4, 16, v4
	v_and_or_b32 v8, v4, s11, v3
	v_and_or_b32 v3, v6, s4, v5
	v_cmp_ne_u32_e32 vcc, 0, v3
	v_cndmask_b32_e64 v3, 0, 1, vcc
	v_lshrrev_b32_e32 v4, 8, v6
	v_bfe_u32 v5, v6, 20, 11
	v_and_or_b32 v3, v4, s5, v3
	v_sub_u32_e32 v9, 0x3f1, v5
	v_or_b32_e32 v4, 0x1000, v3
	v_med3_i32 v9, v9, 0, 13
	v_lshrrev_b32_e32 v10, v9, v4
	v_lshlrev_b32_e32 v9, v9, v10
	v_cmp_ne_u32_e32 vcc, v9, v4
	v_cndmask_b32_e64 v4, 0, 1, vcc
	v_add_u32_e32 v5, 0xfffffc10, v5
	v_or_b32_e32 v4, v10, v4
	v_lshl_or_b32 v9, v5, 12, v3
	v_cmp_gt_i32_e32 vcc, 1, v5
	v_cndmask_b32_e32 v4, v9, v4, vcc
	v_and_b32_e32 v9, 7, v4
	v_cmp_lt_i32_e32 vcc, 5, v9
	v_cmp_eq_u32_e64 s[0:1], 3, v9
	v_lshrrev_b32_e32 v9, 16, v7
	v_lshrrev_b32_e32 v4, 2, v4
	s_or_b64 vcc, s[0:1], vcc
	v_mul_f16_sdwa v10, v56, v9 dst_sel:DWORD dst_unused:UNUSED_PAD src0_sel:WORD_1 src1_sel:DWORD
	v_addc_co_u32_e32 v4, vcc, 0, v4, vcc
	v_fma_f16 v10, v56, v7, v10
	v_cmp_gt_i32_e32 vcc, 31, v5
	v_cvt_f32_f16_e32 v10, v10
	v_cndmask_b32_e32 v4, v0, v4, vcc
	v_cmp_ne_u32_e32 vcc, 0, v3
	v_cndmask_b32_e64 v3, 0, 1, vcc
	v_lshl_or_b32 v3, v3, 9, v0
	v_cmp_eq_u32_e32 vcc, s10, v5
	v_cndmask_b32_e32 v5, v4, v3, vcc
	v_cvt_f64_f32_e32 v[3:4], v10
	v_lshrrev_b32_e32 v6, 16, v6
	v_and_or_b32 v5, v6, s11, v5
	v_and_b32_e32 v6, 0xffff, v8
	v_mul_f64 v[3:4], v[3:4], s[2:3]
	v_lshl_or_b32 v5, v5, 16, v6
	v_mov_b32_e32 v6, s6
	v_add_co_u32_e32 v1, vcc, s7, v1
	v_addc_co_u32_e32 v2, vcc, v2, v6, vcc
	global_store_dword v[1:2], v5, off
	v_and_or_b32 v3, v4, s4, v3
	v_cmp_ne_u32_e32 vcc, 0, v3
	v_cndmask_b32_e64 v3, 0, 1, vcc
	v_lshrrev_b32_e32 v5, 8, v4
	v_bfe_u32 v6, v4, 20, 11
	v_and_or_b32 v3, v5, s5, v3
	v_sub_u32_e32 v8, 0x3f1, v6
	v_or_b32_e32 v5, 0x1000, v3
	v_med3_i32 v8, v8, 0, 13
	v_lshrrev_b32_e32 v10, v8, v5
	v_lshlrev_b32_e32 v8, v8, v10
	v_mul_f16_sdwa v7, v56, v7 dst_sel:DWORD dst_unused:UNUSED_PAD src0_sel:WORD_1 src1_sel:DWORD
	v_cmp_ne_u32_e32 vcc, v8, v5
	v_fma_f16 v7, v56, v9, -v7
	v_cndmask_b32_e64 v5, 0, 1, vcc
	v_add_u32_e32 v8, 0xfffffc10, v6
	v_cvt_f32_f16_e32 v7, v7
	v_or_b32_e32 v5, v10, v5
	v_lshl_or_b32 v6, v8, 12, v3
	v_cmp_gt_i32_e32 vcc, 1, v8
	v_cndmask_b32_e32 v5, v6, v5, vcc
	v_and_b32_e32 v6, 7, v5
	v_cmp_lt_i32_e32 vcc, 5, v6
	v_cmp_eq_u32_e64 s[0:1], 3, v6
	v_lshrrev_b32_e32 v9, 2, v5
	v_cvt_f64_f32_e32 v[5:6], v7
	s_or_b64 vcc, s[0:1], vcc
	v_addc_co_u32_e32 v7, vcc, 0, v9, vcc
	v_mul_f64 v[5:6], v[5:6], s[2:3]
	v_cmp_gt_i32_e32 vcc, 31, v8
	v_cndmask_b32_e32 v7, v0, v7, vcc
	v_cmp_ne_u32_e32 vcc, 0, v3
	v_cndmask_b32_e64 v3, 0, 1, vcc
	v_lshl_or_b32 v3, v3, 9, v0
	v_cmp_eq_u32_e32 vcc, s10, v8
	v_cndmask_b32_e32 v3, v7, v3, vcc
	v_lshrrev_b32_e32 v4, 16, v4
	v_and_or_b32 v9, v4, s11, v3
	v_and_or_b32 v3, v6, s4, v5
	v_cmp_ne_u32_e32 vcc, 0, v3
	v_cndmask_b32_e64 v3, 0, 1, vcc
	v_lshrrev_b32_e32 v4, 8, v6
	v_and_or_b32 v5, v4, s5, v3
	v_bfe_u32 v4, v6, 20, 11
	v_sub_u32_e32 v7, 0x3f1, v4
	v_or_b32_e32 v3, 0x1000, v5
	v_med3_i32 v7, v7, 0, 13
	v_lshrrev_b32_e32 v8, v7, v3
	v_lshlrev_b32_e32 v7, v7, v8
	v_cmp_ne_u32_e32 vcc, v7, v3
	v_cndmask_b32_e64 v3, 0, 1, vcc
	v_add_u32_e32 v7, 0xfffffc10, v4
	v_or_b32_e32 v3, v8, v3
	v_lshl_or_b32 v4, v7, 12, v5
	v_cmp_gt_i32_e32 vcc, 1, v7
	v_cndmask_b32_e32 v3, v4, v3, vcc
	v_and_b32_e32 v4, 7, v3
	v_cmp_lt_i32_e32 vcc, 5, v4
	v_cmp_eq_u32_e64 s[0:1], 3, v4
	v_lshrrev_b32_e32 v3, 2, v3
	s_or_b64 vcc, s[0:1], vcc
	v_addc_co_u32_e32 v8, vcc, 0, v3, vcc
	v_add_u32_e32 v3, 0x400, v49
	ds_read2_b32 v[3:4], v3 offset0:84 offset1:152
	v_cmp_gt_i32_e32 vcc, 31, v7
	v_cndmask_b32_e32 v8, v0, v8, vcc
	v_cmp_ne_u32_e32 vcc, 0, v5
	v_cndmask_b32_e64 v5, 0, 1, vcc
	s_waitcnt lgkmcnt(0)
	v_lshrrev_b32_e32 v10, 16, v3
	v_mul_f16_sdwa v11, v55, v10 dst_sel:DWORD dst_unused:UNUSED_PAD src0_sel:WORD_1 src1_sel:DWORD
	v_fma_f16 v11, v55, v3, v11
	v_cvt_f32_f16_e32 v11, v11
	v_lshl_or_b32 v5, v5, 9, v0
	v_cmp_eq_u32_e32 vcc, s10, v7
	v_cndmask_b32_e32 v5, v8, v5, vcc
	v_cvt_f64_f32_e32 v[7:8], v11
	v_lshrrev_b32_e32 v6, 16, v6
	v_and_or_b32 v11, v6, s11, v5
	v_add_co_u32_e32 v1, vcc, s7, v1
	v_mul_f64 v[5:6], v[7:8], s[2:3]
	v_mov_b32_e32 v8, s6
	v_and_b32_e32 v9, 0xffff, v9
	v_addc_co_u32_e32 v2, vcc, v2, v8, vcc
	v_lshl_or_b32 v7, v11, 16, v9
	global_store_dword v[1:2], v7, off
	v_mul_f16_sdwa v3, v55, v3 dst_sel:DWORD dst_unused:UNUSED_PAD src0_sel:WORD_1 src1_sel:DWORD
	v_and_or_b32 v5, v6, s4, v5
	v_cmp_ne_u32_e32 vcc, 0, v5
	v_cndmask_b32_e64 v5, 0, 1, vcc
	v_lshrrev_b32_e32 v7, 8, v6
	v_bfe_u32 v8, v6, 20, 11
	v_and_or_b32 v5, v7, s5, v5
	v_sub_u32_e32 v9, 0x3f1, v8
	v_or_b32_e32 v7, 0x1000, v5
	v_med3_i32 v9, v9, 0, 13
	v_lshrrev_b32_e32 v11, v9, v7
	v_lshlrev_b32_e32 v9, v9, v11
	v_cmp_ne_u32_e32 vcc, v9, v7
	v_fma_f16 v3, v55, v10, -v3
	v_cndmask_b32_e64 v7, 0, 1, vcc
	v_add_u32_e32 v9, 0xfffffc10, v8
	v_cvt_f32_f16_e32 v3, v3
	v_or_b32_e32 v7, v11, v7
	v_lshl_or_b32 v8, v9, 12, v5
	v_cmp_gt_i32_e32 vcc, 1, v9
	v_cndmask_b32_e32 v7, v8, v7, vcc
	v_and_b32_e32 v8, 7, v7
	v_cmp_lt_i32_e32 vcc, 5, v8
	v_cmp_eq_u32_e64 s[0:1], 3, v8
	v_lshrrev_b32_e32 v10, 2, v7
	v_cvt_f64_f32_e32 v[7:8], v3
	s_or_b64 vcc, s[0:1], vcc
	v_addc_co_u32_e32 v3, vcc, 0, v10, vcc
	v_mul_f64 v[7:8], v[7:8], s[2:3]
	v_cmp_gt_i32_e32 vcc, 31, v9
	v_cndmask_b32_e32 v3, v0, v3, vcc
	v_cmp_ne_u32_e32 vcc, 0, v5
	v_cndmask_b32_e64 v5, 0, 1, vcc
	v_lshl_or_b32 v5, v5, 9, v0
	v_cmp_eq_u32_e32 vcc, s10, v9
	v_cndmask_b32_e32 v3, v3, v5, vcc
	v_lshrrev_b32_e32 v5, 16, v6
	v_and_or_b32 v3, v5, s11, v3
	v_and_or_b32 v5, v8, s4, v7
	v_cmp_ne_u32_e32 vcc, 0, v5
	v_cndmask_b32_e64 v5, 0, 1, vcc
	v_lshrrev_b32_e32 v6, 8, v8
	v_bfe_u32 v7, v8, 20, 11
	v_and_or_b32 v5, v6, s5, v5
	v_sub_u32_e32 v9, 0x3f1, v7
	v_or_b32_e32 v6, 0x1000, v5
	v_med3_i32 v9, v9, 0, 13
	v_lshrrev_b32_e32 v10, v9, v6
	v_lshlrev_b32_e32 v9, v9, v10
	v_cmp_ne_u32_e32 vcc, v9, v6
	v_cndmask_b32_e64 v6, 0, 1, vcc
	v_add_u32_e32 v7, 0xfffffc10, v7
	v_or_b32_e32 v6, v10, v6
	v_lshl_or_b32 v9, v7, 12, v5
	v_cmp_gt_i32_e32 vcc, 1, v7
	v_cndmask_b32_e32 v6, v9, v6, vcc
	v_and_b32_e32 v9, 7, v6
	v_cmp_lt_i32_e32 vcc, 5, v9
	v_cmp_eq_u32_e64 s[0:1], 3, v9
	v_lshrrev_b32_e32 v9, 16, v4
	v_lshrrev_b32_e32 v6, 2, v6
	s_or_b64 vcc, s[0:1], vcc
	v_mul_f16_sdwa v10, v54, v9 dst_sel:DWORD dst_unused:UNUSED_PAD src0_sel:WORD_1 src1_sel:DWORD
	v_addc_co_u32_e32 v6, vcc, 0, v6, vcc
	v_fma_f16 v10, v54, v4, v10
	v_cmp_gt_i32_e32 vcc, 31, v7
	v_cvt_f32_f16_e32 v10, v10
	v_cndmask_b32_e32 v6, v0, v6, vcc
	v_cmp_ne_u32_e32 vcc, 0, v5
	v_cndmask_b32_e64 v5, 0, 1, vcc
	v_lshl_or_b32 v5, v5, 9, v0
	v_cmp_eq_u32_e32 vcc, s10, v7
	v_cndmask_b32_e32 v7, v6, v5, vcc
	v_cvt_f64_f32_e32 v[5:6], v10
	v_lshrrev_b32_e32 v8, 16, v8
	v_and_or_b32 v7, v8, s11, v7
	v_and_b32_e32 v3, 0xffff, v3
	v_mul_f64 v[5:6], v[5:6], s[2:3]
	v_lshl_or_b32 v3, v7, 16, v3
	v_mov_b32_e32 v7, s6
	v_add_co_u32_e32 v1, vcc, s7, v1
	v_addc_co_u32_e32 v2, vcc, v2, v7, vcc
	global_store_dword v[1:2], v3, off
	v_and_or_b32 v3, v6, s4, v5
	v_cmp_ne_u32_e32 vcc, 0, v3
	v_cndmask_b32_e64 v3, 0, 1, vcc
	v_lshrrev_b32_e32 v5, 8, v6
	v_bfe_u32 v7, v6, 20, 11
	v_and_or_b32 v5, v5, s5, v3
	v_sub_u32_e32 v8, 0x3f1, v7
	v_or_b32_e32 v3, 0x1000, v5
	v_med3_i32 v8, v8, 0, 13
	v_lshrrev_b32_e32 v10, v8, v3
	v_lshlrev_b32_e32 v8, v8, v10
	v_mul_f16_sdwa v4, v54, v4 dst_sel:DWORD dst_unused:UNUSED_PAD src0_sel:WORD_1 src1_sel:DWORD
	v_cmp_ne_u32_e32 vcc, v8, v3
	v_fma_f16 v4, v54, v9, -v4
	v_cndmask_b32_e64 v3, 0, 1, vcc
	v_add_u32_e32 v7, 0xfffffc10, v7
	v_cvt_f32_f16_e32 v4, v4
	v_or_b32_e32 v3, v10, v3
	v_lshl_or_b32 v8, v7, 12, v5
	v_cmp_gt_i32_e32 vcc, 1, v7
	v_cndmask_b32_e32 v3, v8, v3, vcc
	v_and_b32_e32 v8, 7, v3
	v_cmp_lt_i32_e32 vcc, 5, v8
	v_cmp_eq_u32_e64 s[0:1], 3, v8
	v_lshrrev_b32_e32 v8, 2, v3
	v_cvt_f64_f32_e32 v[3:4], v4
	s_or_b64 vcc, s[0:1], vcc
	v_addc_co_u32_e32 v8, vcc, 0, v8, vcc
	v_mul_f64 v[3:4], v[3:4], s[2:3]
	v_cmp_gt_i32_e32 vcc, 31, v7
	v_cndmask_b32_e32 v8, v0, v8, vcc
	v_cmp_ne_u32_e32 vcc, 0, v5
	v_cndmask_b32_e64 v5, 0, 1, vcc
	v_lshl_or_b32 v5, v5, 9, v0
	v_cmp_eq_u32_e32 vcc, s10, v7
	v_cndmask_b32_e32 v5, v8, v5, vcc
	v_and_or_b32 v3, v4, s4, v3
	v_lshrrev_b32_e32 v6, 16, v6
	v_cmp_ne_u32_e32 vcc, 0, v3
	v_and_or_b32 v9, v6, s11, v5
	v_cndmask_b32_e64 v3, 0, 1, vcc
	v_lshrrev_b32_e32 v5, 8, v4
	v_bfe_u32 v6, v4, 20, 11
	v_and_or_b32 v3, v5, s5, v3
	v_sub_u32_e32 v7, 0x3f1, v6
	v_or_b32_e32 v5, 0x1000, v3
	v_med3_i32 v7, v7, 0, 13
	v_lshrrev_b32_e32 v8, v7, v5
	v_lshlrev_b32_e32 v7, v7, v8
	v_cmp_ne_u32_e32 vcc, v7, v5
	v_cndmask_b32_e64 v5, 0, 1, vcc
	v_add_u32_e32 v7, 0xfffffc10, v6
	v_or_b32_e32 v5, v8, v5
	v_lshl_or_b32 v6, v7, 12, v3
	v_cmp_gt_i32_e32 vcc, 1, v7
	v_cndmask_b32_e32 v5, v6, v5, vcc
	v_and_b32_e32 v6, 7, v5
	v_cmp_lt_i32_e32 vcc, 5, v6
	v_cmp_eq_u32_e64 s[0:1], 3, v6
	v_lshrrev_b32_e32 v5, 2, v5
	s_or_b64 vcc, s[0:1], vcc
	v_addc_co_u32_e32 v8, vcc, 0, v5, vcc
	v_add_u32_e32 v5, 0x600, v49
	ds_read2_b32 v[5:6], v5 offset0:92 offset1:160
	v_cmp_gt_i32_e32 vcc, 31, v7
	v_cndmask_b32_e32 v8, v0, v8, vcc
	v_cmp_ne_u32_e32 vcc, 0, v3
	v_cndmask_b32_e64 v3, 0, 1, vcc
	s_waitcnt lgkmcnt(0)
	v_lshrrev_b32_e32 v10, 16, v5
	v_mul_f16_sdwa v11, v53, v10 dst_sel:DWORD dst_unused:UNUSED_PAD src0_sel:WORD_1 src1_sel:DWORD
	v_fma_f16 v11, v53, v5, v11
	v_cvt_f32_f16_e32 v11, v11
	v_lshl_or_b32 v3, v3, 9, v0
	v_cmp_eq_u32_e32 vcc, s10, v7
	v_cndmask_b32_e32 v3, v8, v3, vcc
	v_cvt_f64_f32_e32 v[7:8], v11
	v_lshrrev_b32_e32 v4, 16, v4
	v_and_or_b32 v11, v4, s11, v3
	v_add_co_u32_e32 v1, vcc, s7, v1
	v_mul_f64 v[3:4], v[7:8], s[2:3]
	v_mov_b32_e32 v8, s6
	v_and_b32_e32 v9, 0xffff, v9
	v_addc_co_u32_e32 v2, vcc, v2, v8, vcc
	v_lshl_or_b32 v7, v11, 16, v9
	global_store_dword v[1:2], v7, off
	v_mul_f16_sdwa v5, v53, v5 dst_sel:DWORD dst_unused:UNUSED_PAD src0_sel:WORD_1 src1_sel:DWORD
	v_and_or_b32 v3, v4, s4, v3
	v_cmp_ne_u32_e32 vcc, 0, v3
	v_cndmask_b32_e64 v3, 0, 1, vcc
	v_lshrrev_b32_e32 v7, 8, v4
	v_bfe_u32 v8, v4, 20, 11
	v_and_or_b32 v3, v7, s5, v3
	v_sub_u32_e32 v9, 0x3f1, v8
	v_or_b32_e32 v7, 0x1000, v3
	v_med3_i32 v9, v9, 0, 13
	v_lshrrev_b32_e32 v11, v9, v7
	v_lshlrev_b32_e32 v9, v9, v11
	v_cmp_ne_u32_e32 vcc, v9, v7
	v_fma_f16 v5, v53, v10, -v5
	v_cndmask_b32_e64 v7, 0, 1, vcc
	v_add_u32_e32 v9, 0xfffffc10, v8
	v_cvt_f32_f16_e32 v5, v5
	v_or_b32_e32 v7, v11, v7
	v_lshl_or_b32 v8, v9, 12, v3
	v_cmp_gt_i32_e32 vcc, 1, v9
	v_cndmask_b32_e32 v7, v8, v7, vcc
	v_and_b32_e32 v8, 7, v7
	v_cmp_lt_i32_e32 vcc, 5, v8
	v_cmp_eq_u32_e64 s[0:1], 3, v8
	v_lshrrev_b32_e32 v10, 2, v7
	v_cvt_f64_f32_e32 v[7:8], v5
	s_or_b64 vcc, s[0:1], vcc
	v_addc_co_u32_e32 v5, vcc, 0, v10, vcc
	v_mul_f64 v[7:8], v[7:8], s[2:3]
	v_cmp_gt_i32_e32 vcc, 31, v9
	v_cndmask_b32_e32 v5, v0, v5, vcc
	v_cmp_ne_u32_e32 vcc, 0, v3
	v_cndmask_b32_e64 v3, 0, 1, vcc
	v_lshl_or_b32 v3, v3, 9, v0
	v_cmp_eq_u32_e32 vcc, s10, v9
	v_cndmask_b32_e32 v3, v5, v3, vcc
	v_lshrrev_b32_e32 v4, 16, v4
	v_and_or_b32 v5, v4, s11, v3
	v_and_or_b32 v3, v8, s4, v7
	v_cmp_ne_u32_e32 vcc, 0, v3
	v_cndmask_b32_e64 v3, 0, 1, vcc
	v_lshrrev_b32_e32 v4, 8, v8
	v_bfe_u32 v7, v8, 20, 11
	v_and_or_b32 v3, v4, s5, v3
	v_sub_u32_e32 v9, 0x3f1, v7
	v_or_b32_e32 v4, 0x1000, v3
	v_med3_i32 v9, v9, 0, 13
	v_lshrrev_b32_e32 v10, v9, v4
	v_lshlrev_b32_e32 v9, v9, v10
	v_cmp_ne_u32_e32 vcc, v9, v4
	v_cndmask_b32_e64 v4, 0, 1, vcc
	v_add_u32_e32 v7, 0xfffffc10, v7
	v_or_b32_e32 v4, v10, v4
	v_lshl_or_b32 v9, v7, 12, v3
	v_cmp_gt_i32_e32 vcc, 1, v7
	v_cndmask_b32_e32 v4, v9, v4, vcc
	v_and_b32_e32 v9, 7, v4
	v_cmp_lt_i32_e32 vcc, 5, v9
	v_cmp_eq_u32_e64 s[0:1], 3, v9
	v_lshrrev_b32_e32 v9, 16, v6
	v_lshrrev_b32_e32 v4, 2, v4
	s_or_b64 vcc, s[0:1], vcc
	v_mul_f16_sdwa v10, v52, v9 dst_sel:DWORD dst_unused:UNUSED_PAD src0_sel:WORD_1 src1_sel:DWORD
	v_addc_co_u32_e32 v4, vcc, 0, v4, vcc
	v_fma_f16 v10, v52, v6, v10
	v_cmp_gt_i32_e32 vcc, 31, v7
	v_cvt_f32_f16_e32 v10, v10
	v_cndmask_b32_e32 v4, v0, v4, vcc
	v_cmp_ne_u32_e32 vcc, 0, v3
	v_cndmask_b32_e64 v3, 0, 1, vcc
	v_lshl_or_b32 v3, v3, 9, v0
	v_cmp_eq_u32_e32 vcc, s10, v7
	v_cndmask_b32_e32 v7, v4, v3, vcc
	v_cvt_f64_f32_e32 v[3:4], v10
	v_lshrrev_b32_e32 v8, 16, v8
	v_and_or_b32 v7, v8, s11, v7
	v_and_b32_e32 v5, 0xffff, v5
	v_mul_f64 v[3:4], v[3:4], s[2:3]
	v_lshl_or_b32 v5, v7, 16, v5
	v_mov_b32_e32 v7, s6
	v_add_co_u32_e32 v1, vcc, s7, v1
	v_addc_co_u32_e32 v2, vcc, v2, v7, vcc
	global_store_dword v[1:2], v5, off
	v_and_or_b32 v3, v4, s4, v3
	v_cmp_ne_u32_e32 vcc, 0, v3
	v_cndmask_b32_e64 v3, 0, 1, vcc
	v_lshrrev_b32_e32 v5, 8, v4
	v_bfe_u32 v7, v4, 20, 11
	v_and_or_b32 v3, v5, s5, v3
	v_sub_u32_e32 v8, 0x3f1, v7
	v_or_b32_e32 v5, 0x1000, v3
	v_med3_i32 v8, v8, 0, 13
	v_lshrrev_b32_e32 v10, v8, v5
	v_lshlrev_b32_e32 v8, v8, v10
	v_mul_f16_sdwa v6, v52, v6 dst_sel:DWORD dst_unused:UNUSED_PAD src0_sel:WORD_1 src1_sel:DWORD
	v_cmp_ne_u32_e32 vcc, v8, v5
	v_fma_f16 v6, v52, v9, -v6
	v_cndmask_b32_e64 v5, 0, 1, vcc
	v_add_u32_e32 v7, 0xfffffc10, v7
	v_cvt_f32_f16_e32 v6, v6
	v_or_b32_e32 v5, v10, v5
	v_lshl_or_b32 v8, v7, 12, v3
	v_cmp_gt_i32_e32 vcc, 1, v7
	v_cndmask_b32_e32 v5, v8, v5, vcc
	v_and_b32_e32 v8, 7, v5
	v_cmp_lt_i32_e32 vcc, 5, v8
	v_cmp_eq_u32_e64 s[0:1], 3, v8
	v_lshrrev_b32_e32 v8, 2, v5
	v_cvt_f64_f32_e32 v[5:6], v6
	s_or_b64 vcc, s[0:1], vcc
	v_addc_co_u32_e32 v8, vcc, 0, v8, vcc
	v_mul_f64 v[5:6], v[5:6], s[2:3]
	v_cmp_gt_i32_e32 vcc, 31, v7
	v_cndmask_b32_e32 v8, v0, v8, vcc
	v_cmp_ne_u32_e32 vcc, 0, v3
	v_cndmask_b32_e64 v3, 0, 1, vcc
	v_lshl_or_b32 v3, v3, 9, v0
	v_cmp_eq_u32_e32 vcc, s10, v7
	v_cndmask_b32_e32 v3, v8, v3, vcc
	v_lshrrev_b32_e32 v4, 16, v4
	v_and_or_b32 v9, v4, s11, v3
	v_and_or_b32 v3, v6, s4, v5
	v_cmp_ne_u32_e32 vcc, 0, v3
	v_cndmask_b32_e64 v3, 0, 1, vcc
	v_lshrrev_b32_e32 v4, 8, v6
	v_and_or_b32 v5, v4, s5, v3
	v_bfe_u32 v4, v6, 20, 11
	v_sub_u32_e32 v7, 0x3f1, v4
	v_or_b32_e32 v3, 0x1000, v5
	v_med3_i32 v7, v7, 0, 13
	v_lshrrev_b32_e32 v8, v7, v3
	v_lshlrev_b32_e32 v7, v7, v8
	v_cmp_ne_u32_e32 vcc, v7, v3
	v_cndmask_b32_e64 v3, 0, 1, vcc
	v_add_u32_e32 v7, 0xfffffc10, v4
	v_or_b32_e32 v3, v8, v3
	v_lshl_or_b32 v4, v7, 12, v5
	v_cmp_gt_i32_e32 vcc, 1, v7
	v_cndmask_b32_e32 v3, v4, v3, vcc
	v_and_b32_e32 v4, 7, v3
	v_cmp_lt_i32_e32 vcc, 5, v4
	v_cmp_eq_u32_e64 s[0:1], 3, v4
	v_lshrrev_b32_e32 v3, 2, v3
	s_or_b64 vcc, s[0:1], vcc
	v_addc_co_u32_e32 v8, vcc, 0, v3, vcc
	v_add_u32_e32 v3, 0x800, v49
	ds_read2_b32 v[3:4], v3 offset0:100 offset1:168
	v_cmp_gt_i32_e32 vcc, 31, v7
	v_cndmask_b32_e32 v8, v0, v8, vcc
	v_cmp_ne_u32_e32 vcc, 0, v5
	v_cndmask_b32_e64 v5, 0, 1, vcc
	s_waitcnt lgkmcnt(0)
	v_lshrrev_b32_e32 v10, 16, v3
	v_mul_f16_sdwa v11, v51, v10 dst_sel:DWORD dst_unused:UNUSED_PAD src0_sel:WORD_1 src1_sel:DWORD
	v_fma_f16 v11, v51, v3, v11
	v_cvt_f32_f16_e32 v11, v11
	v_lshl_or_b32 v5, v5, 9, v0
	v_cmp_eq_u32_e32 vcc, s10, v7
	v_cndmask_b32_e32 v5, v8, v5, vcc
	v_cvt_f64_f32_e32 v[7:8], v11
	v_lshrrev_b32_e32 v6, 16, v6
	v_and_or_b32 v11, v6, s11, v5
	v_add_co_u32_e32 v1, vcc, s7, v1
	v_mul_f64 v[5:6], v[7:8], s[2:3]
	v_mov_b32_e32 v8, s6
	v_and_b32_e32 v9, 0xffff, v9
	v_addc_co_u32_e32 v2, vcc, v2, v8, vcc
	v_lshl_or_b32 v7, v11, 16, v9
	global_store_dword v[1:2], v7, off
	v_mul_f16_sdwa v3, v51, v3 dst_sel:DWORD dst_unused:UNUSED_PAD src0_sel:WORD_1 src1_sel:DWORD
	v_and_or_b32 v5, v6, s4, v5
	v_cmp_ne_u32_e32 vcc, 0, v5
	v_cndmask_b32_e64 v5, 0, 1, vcc
	v_lshrrev_b32_e32 v7, 8, v6
	v_bfe_u32 v8, v6, 20, 11
	v_and_or_b32 v5, v7, s5, v5
	v_sub_u32_e32 v9, 0x3f1, v8
	v_or_b32_e32 v7, 0x1000, v5
	v_med3_i32 v9, v9, 0, 13
	v_lshrrev_b32_e32 v11, v9, v7
	v_lshlrev_b32_e32 v9, v9, v11
	v_cmp_ne_u32_e32 vcc, v9, v7
	v_fma_f16 v3, v51, v10, -v3
	v_cndmask_b32_e64 v7, 0, 1, vcc
	v_add_u32_e32 v9, 0xfffffc10, v8
	v_cvt_f32_f16_e32 v3, v3
	v_or_b32_e32 v7, v11, v7
	v_lshl_or_b32 v8, v9, 12, v5
	v_cmp_gt_i32_e32 vcc, 1, v9
	v_cndmask_b32_e32 v7, v8, v7, vcc
	v_and_b32_e32 v8, 7, v7
	v_cmp_lt_i32_e32 vcc, 5, v8
	v_cmp_eq_u32_e64 s[0:1], 3, v8
	v_lshrrev_b32_e32 v10, 2, v7
	v_cvt_f64_f32_e32 v[7:8], v3
	s_or_b64 vcc, s[0:1], vcc
	v_addc_co_u32_e32 v3, vcc, 0, v10, vcc
	v_mul_f64 v[7:8], v[7:8], s[2:3]
	v_cmp_gt_i32_e32 vcc, 31, v9
	v_cndmask_b32_e32 v3, v0, v3, vcc
	v_cmp_ne_u32_e32 vcc, 0, v5
	v_cndmask_b32_e64 v5, 0, 1, vcc
	v_lshl_or_b32 v5, v5, 9, v0
	v_cmp_eq_u32_e32 vcc, s10, v9
	v_cndmask_b32_e32 v3, v3, v5, vcc
	v_lshrrev_b32_e32 v5, 16, v6
	v_and_or_b32 v3, v5, s11, v3
	v_and_or_b32 v5, v8, s4, v7
	v_cmp_ne_u32_e32 vcc, 0, v5
	v_cndmask_b32_e64 v5, 0, 1, vcc
	v_lshrrev_b32_e32 v6, 8, v8
	v_bfe_u32 v7, v8, 20, 11
	v_and_or_b32 v5, v6, s5, v5
	v_sub_u32_e32 v9, 0x3f1, v7
	v_or_b32_e32 v6, 0x1000, v5
	v_med3_i32 v9, v9, 0, 13
	v_lshrrev_b32_e32 v10, v9, v6
	v_lshlrev_b32_e32 v9, v9, v10
	v_cmp_ne_u32_e32 vcc, v9, v6
	v_cndmask_b32_e64 v6, 0, 1, vcc
	v_add_u32_e32 v7, 0xfffffc10, v7
	v_or_b32_e32 v6, v10, v6
	v_lshl_or_b32 v9, v7, 12, v5
	v_cmp_gt_i32_e32 vcc, 1, v7
	v_cndmask_b32_e32 v6, v9, v6, vcc
	v_and_b32_e32 v9, 7, v6
	v_cmp_lt_i32_e32 vcc, 5, v9
	v_cmp_eq_u32_e64 s[0:1], 3, v9
	v_lshrrev_b32_e32 v9, 16, v4
	v_lshrrev_b32_e32 v6, 2, v6
	s_or_b64 vcc, s[0:1], vcc
	v_mul_f16_sdwa v10, v50, v9 dst_sel:DWORD dst_unused:UNUSED_PAD src0_sel:WORD_1 src1_sel:DWORD
	v_addc_co_u32_e32 v6, vcc, 0, v6, vcc
	v_fma_f16 v10, v50, v4, v10
	v_cmp_gt_i32_e32 vcc, 31, v7
	v_cvt_f32_f16_e32 v10, v10
	v_cndmask_b32_e32 v6, v0, v6, vcc
	v_cmp_ne_u32_e32 vcc, 0, v5
	v_cndmask_b32_e64 v5, 0, 1, vcc
	v_lshl_or_b32 v5, v5, 9, v0
	v_cmp_eq_u32_e32 vcc, s10, v7
	v_cndmask_b32_e32 v7, v6, v5, vcc
	v_cvt_f64_f32_e32 v[5:6], v10
	v_lshrrev_b32_e32 v8, 16, v8
	v_and_or_b32 v7, v8, s11, v7
	v_and_b32_e32 v3, 0xffff, v3
	v_mul_f64 v[5:6], v[5:6], s[2:3]
	v_lshl_or_b32 v3, v7, 16, v3
	v_mov_b32_e32 v7, s6
	v_add_co_u32_e32 v1, vcc, s7, v1
	v_addc_co_u32_e32 v2, vcc, v2, v7, vcc
	global_store_dword v[1:2], v3, off
	v_and_or_b32 v3, v6, s4, v5
	v_cmp_ne_u32_e32 vcc, 0, v3
	v_cndmask_b32_e64 v3, 0, 1, vcc
	v_lshrrev_b32_e32 v5, 8, v6
	v_bfe_u32 v7, v6, 20, 11
	v_and_or_b32 v5, v5, s5, v3
	v_sub_u32_e32 v8, 0x3f1, v7
	v_or_b32_e32 v3, 0x1000, v5
	v_med3_i32 v8, v8, 0, 13
	v_lshrrev_b32_e32 v10, v8, v3
	v_lshlrev_b32_e32 v8, v8, v10
	v_mul_f16_sdwa v4, v50, v4 dst_sel:DWORD dst_unused:UNUSED_PAD src0_sel:WORD_1 src1_sel:DWORD
	v_cmp_ne_u32_e32 vcc, v8, v3
	v_fma_f16 v4, v50, v9, -v4
	v_cndmask_b32_e64 v3, 0, 1, vcc
	v_add_u32_e32 v7, 0xfffffc10, v7
	v_cvt_f32_f16_e32 v4, v4
	v_or_b32_e32 v3, v10, v3
	v_lshl_or_b32 v8, v7, 12, v5
	v_cmp_gt_i32_e32 vcc, 1, v7
	v_cndmask_b32_e32 v3, v8, v3, vcc
	v_and_b32_e32 v8, 7, v3
	v_cmp_lt_i32_e32 vcc, 5, v8
	v_cmp_eq_u32_e64 s[0:1], 3, v8
	v_lshrrev_b32_e32 v8, 2, v3
	v_cvt_f64_f32_e32 v[3:4], v4
	s_or_b64 vcc, s[0:1], vcc
	v_addc_co_u32_e32 v8, vcc, 0, v8, vcc
	v_mul_f64 v[3:4], v[3:4], s[2:3]
	v_cmp_gt_i32_e32 vcc, 31, v7
	v_cndmask_b32_e32 v8, v0, v8, vcc
	v_cmp_ne_u32_e32 vcc, 0, v5
	v_cndmask_b32_e64 v5, 0, 1, vcc
	v_lshl_or_b32 v5, v5, 9, v0
	v_cmp_eq_u32_e32 vcc, s10, v7
	v_cndmask_b32_e32 v5, v8, v5, vcc
	v_and_or_b32 v3, v4, s4, v3
	v_lshrrev_b32_e32 v6, 16, v6
	v_cmp_ne_u32_e32 vcc, 0, v3
	v_and_or_b32 v9, v6, s11, v5
	v_cndmask_b32_e64 v3, 0, 1, vcc
	v_lshrrev_b32_e32 v5, 8, v4
	v_bfe_u32 v6, v4, 20, 11
	v_and_or_b32 v3, v5, s5, v3
	v_sub_u32_e32 v7, 0x3f1, v6
	v_or_b32_e32 v5, 0x1000, v3
	v_med3_i32 v7, v7, 0, 13
	v_lshrrev_b32_e32 v8, v7, v5
	v_lshlrev_b32_e32 v7, v7, v8
	v_cmp_ne_u32_e32 vcc, v7, v5
	v_cndmask_b32_e64 v5, 0, 1, vcc
	v_add_u32_e32 v7, 0xfffffc10, v6
	v_or_b32_e32 v5, v8, v5
	v_lshl_or_b32 v6, v7, 12, v3
	v_cmp_gt_i32_e32 vcc, 1, v7
	v_cndmask_b32_e32 v5, v6, v5, vcc
	v_and_b32_e32 v6, 7, v5
	v_cmp_lt_i32_e32 vcc, 5, v6
	v_cmp_eq_u32_e64 s[0:1], 3, v6
	v_lshrrev_b32_e32 v5, 2, v5
	s_or_b64 vcc, s[0:1], vcc
	v_addc_co_u32_e32 v8, vcc, 0, v5, vcc
	v_add_u32_e32 v5, 0xa00, v49
	ds_read2_b32 v[5:6], v5 offset0:108 offset1:176
	v_cmp_gt_i32_e32 vcc, 31, v7
	v_cndmask_b32_e32 v8, v0, v8, vcc
	v_cmp_ne_u32_e32 vcc, 0, v3
	v_cndmask_b32_e64 v3, 0, 1, vcc
	s_waitcnt lgkmcnt(0)
	v_lshrrev_b32_e32 v10, 16, v5
	v_mul_f16_sdwa v11, v48, v10 dst_sel:DWORD dst_unused:UNUSED_PAD src0_sel:WORD_1 src1_sel:DWORD
	v_fma_f16 v11, v48, v5, v11
	v_cvt_f32_f16_e32 v11, v11
	v_lshl_or_b32 v3, v3, 9, v0
	v_cmp_eq_u32_e32 vcc, s10, v7
	v_cndmask_b32_e32 v3, v8, v3, vcc
	v_cvt_f64_f32_e32 v[7:8], v11
	v_lshrrev_b32_e32 v4, 16, v4
	v_and_or_b32 v11, v4, s11, v3
	v_add_co_u32_e32 v1, vcc, s7, v1
	v_mul_f64 v[3:4], v[7:8], s[2:3]
	v_mov_b32_e32 v8, s6
	v_and_b32_e32 v9, 0xffff, v9
	v_addc_co_u32_e32 v2, vcc, v2, v8, vcc
	v_lshl_or_b32 v7, v11, 16, v9
	global_store_dword v[1:2], v7, off
	v_mul_f16_sdwa v5, v48, v5 dst_sel:DWORD dst_unused:UNUSED_PAD src0_sel:WORD_1 src1_sel:DWORD
	v_and_or_b32 v3, v4, s4, v3
	v_cmp_ne_u32_e32 vcc, 0, v3
	v_cndmask_b32_e64 v3, 0, 1, vcc
	v_lshrrev_b32_e32 v7, 8, v4
	v_bfe_u32 v8, v4, 20, 11
	v_and_or_b32 v3, v7, s5, v3
	v_sub_u32_e32 v9, 0x3f1, v8
	v_or_b32_e32 v7, 0x1000, v3
	v_med3_i32 v9, v9, 0, 13
	v_lshrrev_b32_e32 v11, v9, v7
	v_lshlrev_b32_e32 v9, v9, v11
	v_cmp_ne_u32_e32 vcc, v9, v7
	v_fma_f16 v5, v48, v10, -v5
	v_cndmask_b32_e64 v7, 0, 1, vcc
	v_add_u32_e32 v9, 0xfffffc10, v8
	v_cvt_f32_f16_e32 v5, v5
	v_or_b32_e32 v7, v11, v7
	v_lshl_or_b32 v8, v9, 12, v3
	v_cmp_gt_i32_e32 vcc, 1, v9
	v_cndmask_b32_e32 v7, v8, v7, vcc
	v_and_b32_e32 v8, 7, v7
	v_cmp_lt_i32_e32 vcc, 5, v8
	v_cmp_eq_u32_e64 s[0:1], 3, v8
	v_lshrrev_b32_e32 v10, 2, v7
	v_cvt_f64_f32_e32 v[7:8], v5
	s_or_b64 vcc, s[0:1], vcc
	v_addc_co_u32_e32 v5, vcc, 0, v10, vcc
	v_mul_f64 v[7:8], v[7:8], s[2:3]
	v_cmp_gt_i32_e32 vcc, 31, v9
	v_cndmask_b32_e32 v5, v0, v5, vcc
	v_cmp_ne_u32_e32 vcc, 0, v3
	v_cndmask_b32_e64 v3, 0, 1, vcc
	v_lshl_or_b32 v3, v3, 9, v0
	v_cmp_eq_u32_e32 vcc, s10, v9
	v_cndmask_b32_e32 v3, v5, v3, vcc
	v_lshrrev_b32_e32 v4, 16, v4
	v_and_or_b32 v5, v4, s11, v3
	v_and_or_b32 v3, v8, s4, v7
	v_cmp_ne_u32_e32 vcc, 0, v3
	v_cndmask_b32_e64 v3, 0, 1, vcc
	v_lshrrev_b32_e32 v4, 8, v8
	v_bfe_u32 v7, v8, 20, 11
	v_and_or_b32 v3, v4, s5, v3
	v_sub_u32_e32 v9, 0x3f1, v7
	v_or_b32_e32 v4, 0x1000, v3
	v_med3_i32 v9, v9, 0, 13
	v_lshrrev_b32_e32 v10, v9, v4
	v_lshlrev_b32_e32 v9, v9, v10
	v_cmp_ne_u32_e32 vcc, v9, v4
	v_cndmask_b32_e64 v4, 0, 1, vcc
	v_add_u32_e32 v7, 0xfffffc10, v7
	v_or_b32_e32 v4, v10, v4
	v_lshl_or_b32 v9, v7, 12, v3
	v_cmp_gt_i32_e32 vcc, 1, v7
	v_cndmask_b32_e32 v4, v9, v4, vcc
	v_and_b32_e32 v9, 7, v4
	v_cmp_lt_i32_e32 vcc, 5, v9
	v_cmp_eq_u32_e64 s[0:1], 3, v9
	v_lshrrev_b32_e32 v9, 16, v6
	v_lshrrev_b32_e32 v4, 2, v4
	s_or_b64 vcc, s[0:1], vcc
	v_mul_f16_sdwa v10, v47, v9 dst_sel:DWORD dst_unused:UNUSED_PAD src0_sel:WORD_1 src1_sel:DWORD
	v_addc_co_u32_e32 v4, vcc, 0, v4, vcc
	v_fma_f16 v10, v47, v6, v10
	v_cmp_gt_i32_e32 vcc, 31, v7
	v_cvt_f32_f16_e32 v10, v10
	v_cndmask_b32_e32 v4, v0, v4, vcc
	v_cmp_ne_u32_e32 vcc, 0, v3
	v_cndmask_b32_e64 v3, 0, 1, vcc
	v_lshl_or_b32 v3, v3, 9, v0
	v_cmp_eq_u32_e32 vcc, s10, v7
	v_cndmask_b32_e32 v7, v4, v3, vcc
	v_cvt_f64_f32_e32 v[3:4], v10
	v_lshrrev_b32_e32 v8, 16, v8
	v_and_or_b32 v7, v8, s11, v7
	v_and_b32_e32 v5, 0xffff, v5
	v_mul_f64 v[3:4], v[3:4], s[2:3]
	v_lshl_or_b32 v5, v7, 16, v5
	v_mov_b32_e32 v7, s6
	v_add_co_u32_e32 v1, vcc, s7, v1
	v_addc_co_u32_e32 v2, vcc, v2, v7, vcc
	global_store_dword v[1:2], v5, off
	v_and_or_b32 v3, v4, s4, v3
	v_cmp_ne_u32_e32 vcc, 0, v3
	v_cndmask_b32_e64 v3, 0, 1, vcc
	v_lshrrev_b32_e32 v5, 8, v4
	v_bfe_u32 v7, v4, 20, 11
	v_and_or_b32 v3, v5, s5, v3
	v_sub_u32_e32 v8, 0x3f1, v7
	v_or_b32_e32 v5, 0x1000, v3
	v_med3_i32 v8, v8, 0, 13
	v_lshrrev_b32_e32 v10, v8, v5
	v_lshlrev_b32_e32 v8, v8, v10
	v_mul_f16_sdwa v6, v47, v6 dst_sel:DWORD dst_unused:UNUSED_PAD src0_sel:WORD_1 src1_sel:DWORD
	v_cmp_ne_u32_e32 vcc, v8, v5
	v_fma_f16 v6, v47, v9, -v6
	v_cndmask_b32_e64 v5, 0, 1, vcc
	v_add_u32_e32 v7, 0xfffffc10, v7
	v_cvt_f32_f16_e32 v6, v6
	v_or_b32_e32 v5, v10, v5
	v_lshl_or_b32 v8, v7, 12, v3
	v_cmp_gt_i32_e32 vcc, 1, v7
	v_cndmask_b32_e32 v5, v8, v5, vcc
	v_and_b32_e32 v8, 7, v5
	v_cmp_lt_i32_e32 vcc, 5, v8
	v_cmp_eq_u32_e64 s[0:1], 3, v8
	v_lshrrev_b32_e32 v8, 2, v5
	v_cvt_f64_f32_e32 v[5:6], v6
	s_or_b64 vcc, s[0:1], vcc
	v_addc_co_u32_e32 v8, vcc, 0, v8, vcc
	v_mul_f64 v[5:6], v[5:6], s[2:3]
	v_cmp_gt_i32_e32 vcc, 31, v7
	v_cndmask_b32_e32 v8, v0, v8, vcc
	v_cmp_ne_u32_e32 vcc, 0, v3
	v_cndmask_b32_e64 v3, 0, 1, vcc
	v_lshl_or_b32 v3, v3, 9, v0
	v_cmp_eq_u32_e32 vcc, s10, v7
	v_cndmask_b32_e32 v3, v8, v3, vcc
	v_lshrrev_b32_e32 v4, 16, v4
	v_and_or_b32 v3, v4, s11, v3
	v_and_or_b32 v4, v6, s4, v5
	v_cmp_ne_u32_e32 vcc, 0, v4
	v_cndmask_b32_e64 v4, 0, 1, vcc
	v_lshrrev_b32_e32 v5, 8, v6
	v_bfe_u32 v7, v6, 20, 11
	v_and_or_b32 v4, v5, s5, v4
	v_sub_u32_e32 v8, 0x3f1, v7
	v_or_b32_e32 v5, 0x1000, v4
	v_med3_i32 v8, v8, 0, 13
	v_lshrrev_b32_e32 v9, v8, v5
	v_lshlrev_b32_e32 v8, v8, v9
	v_cmp_ne_u32_e32 vcc, v8, v5
	v_cndmask_b32_e64 v5, 0, 1, vcc
	v_add_u32_e32 v7, 0xfffffc10, v7
	v_or_b32_e32 v5, v9, v5
	v_lshl_or_b32 v8, v7, 12, v4
	v_cmp_gt_i32_e32 vcc, 1, v7
	v_cndmask_b32_e32 v5, v8, v5, vcc
	v_and_b32_e32 v8, 7, v5
	v_cmp_lt_i32_e32 vcc, 5, v8
	v_cmp_eq_u32_e64 s[0:1], 3, v8
	v_lshrrev_b32_e32 v5, 2, v5
	s_or_b64 vcc, s[0:1], vcc
	v_addc_co_u32_e32 v5, vcc, 0, v5, vcc
	v_cmp_gt_i32_e32 vcc, 31, v7
	v_cndmask_b32_e32 v5, v0, v5, vcc
	v_cmp_ne_u32_e32 vcc, 0, v4
	v_cndmask_b32_e64 v4, 0, 1, vcc
	v_lshl_or_b32 v0, v4, 9, v0
	v_cmp_eq_u32_e32 vcc, s10, v7
	v_cndmask_b32_e32 v0, v5, v0, vcc
	v_lshrrev_b32_e32 v4, 16, v6
	v_and_or_b32 v0, v4, s11, v0
	v_and_b32_e32 v3, 0xffff, v3
	v_lshl_or_b32 v3, v0, 16, v3
	v_mov_b32_e32 v4, s6
	v_add_co_u32_e32 v0, vcc, s7, v1
	v_addc_co_u32_e32 v1, vcc, v2, v4, vcc
	global_store_dword v[0:1], v3, off
.LBB0_18:
	s_endpgm
	.section	.rodata,"a",@progbits
	.p2align	6, 0x0
	.amdhsa_kernel bluestein_single_back_len884_dim1_half_op_CI_CI
		.amdhsa_group_segment_fixed_size 10608
		.amdhsa_private_segment_fixed_size 160
		.amdhsa_kernarg_size 104
		.amdhsa_user_sgpr_count 6
		.amdhsa_user_sgpr_private_segment_buffer 1
		.amdhsa_user_sgpr_dispatch_ptr 0
		.amdhsa_user_sgpr_queue_ptr 0
		.amdhsa_user_sgpr_kernarg_segment_ptr 1
		.amdhsa_user_sgpr_dispatch_id 0
		.amdhsa_user_sgpr_flat_scratch_init 0
		.amdhsa_user_sgpr_private_segment_size 0
		.amdhsa_uses_dynamic_stack 0
		.amdhsa_system_sgpr_private_segment_wavefront_offset 1
		.amdhsa_system_sgpr_workgroup_id_x 1
		.amdhsa_system_sgpr_workgroup_id_y 0
		.amdhsa_system_sgpr_workgroup_id_z 0
		.amdhsa_system_sgpr_workgroup_info 0
		.amdhsa_system_vgpr_workitem_id 0
		.amdhsa_next_free_vgpr 256
		.amdhsa_next_free_sgpr 44
		.amdhsa_reserve_vcc 1
		.amdhsa_reserve_flat_scratch 0
		.amdhsa_float_round_mode_32 0
		.amdhsa_float_round_mode_16_64 0
		.amdhsa_float_denorm_mode_32 3
		.amdhsa_float_denorm_mode_16_64 3
		.amdhsa_dx10_clamp 1
		.amdhsa_ieee_mode 1
		.amdhsa_fp16_overflow 0
		.amdhsa_exception_fp_ieee_invalid_op 0
		.amdhsa_exception_fp_denorm_src 0
		.amdhsa_exception_fp_ieee_div_zero 0
		.amdhsa_exception_fp_ieee_overflow 0
		.amdhsa_exception_fp_ieee_underflow 0
		.amdhsa_exception_fp_ieee_inexact 0
		.amdhsa_exception_int_div_zero 0
	.end_amdhsa_kernel
	.text
.Lfunc_end0:
	.size	bluestein_single_back_len884_dim1_half_op_CI_CI, .Lfunc_end0-bluestein_single_back_len884_dim1_half_op_CI_CI
                                        ; -- End function
	.section	.AMDGPU.csdata,"",@progbits
; Kernel info:
; codeLenInByte = 29260
; NumSgprs: 48
; NumVgprs: 256
; ScratchSize: 160
; MemoryBound: 0
; FloatMode: 240
; IeeeMode: 1
; LDSByteSize: 10608 bytes/workgroup (compile time only)
; SGPRBlocks: 5
; VGPRBlocks: 63
; NumSGPRsForWavesPerEU: 48
; NumVGPRsForWavesPerEU: 256
; Occupancy: 1
; WaveLimiterHint : 1
; COMPUTE_PGM_RSRC2:SCRATCH_EN: 1
; COMPUTE_PGM_RSRC2:USER_SGPR: 6
; COMPUTE_PGM_RSRC2:TRAP_HANDLER: 0
; COMPUTE_PGM_RSRC2:TGID_X_EN: 1
; COMPUTE_PGM_RSRC2:TGID_Y_EN: 0
; COMPUTE_PGM_RSRC2:TGID_Z_EN: 0
; COMPUTE_PGM_RSRC2:TIDIG_COMP_CNT: 0
	.type	__hip_cuid_36cb2be4649d4c18,@object ; @__hip_cuid_36cb2be4649d4c18
	.section	.bss,"aw",@nobits
	.globl	__hip_cuid_36cb2be4649d4c18
__hip_cuid_36cb2be4649d4c18:
	.byte	0                               ; 0x0
	.size	__hip_cuid_36cb2be4649d4c18, 1

	.ident	"AMD clang version 19.0.0git (https://github.com/RadeonOpenCompute/llvm-project roc-6.4.0 25133 c7fe45cf4b819c5991fe208aaa96edf142730f1d)"
	.section	".note.GNU-stack","",@progbits
	.addrsig
	.addrsig_sym __hip_cuid_36cb2be4649d4c18
	.amdgpu_metadata
---
amdhsa.kernels:
  - .args:
      - .actual_access:  read_only
        .address_space:  global
        .offset:         0
        .size:           8
        .value_kind:     global_buffer
      - .actual_access:  read_only
        .address_space:  global
        .offset:         8
        .size:           8
        .value_kind:     global_buffer
      - .actual_access:  read_only
        .address_space:  global
        .offset:         16
        .size:           8
        .value_kind:     global_buffer
      - .actual_access:  read_only
        .address_space:  global
        .offset:         24
        .size:           8
        .value_kind:     global_buffer
      - .actual_access:  read_only
        .address_space:  global
        .offset:         32
        .size:           8
        .value_kind:     global_buffer
      - .offset:         40
        .size:           8
        .value_kind:     by_value
      - .address_space:  global
        .offset:         48
        .size:           8
        .value_kind:     global_buffer
      - .address_space:  global
        .offset:         56
        .size:           8
        .value_kind:     global_buffer
      - .address_space:  global
        .offset:         64
        .size:           8
        .value_kind:     global_buffer
      - .address_space:  global
        .offset:         72
        .size:           8
        .value_kind:     global_buffer
      - .offset:         80
        .size:           4
        .value_kind:     by_value
      - .address_space:  global
        .offset:         88
        .size:           8
        .value_kind:     global_buffer
      - .address_space:  global
        .offset:         96
        .size:           8
        .value_kind:     global_buffer
    .group_segment_fixed_size: 10608
    .kernarg_segment_align: 8
    .kernarg_segment_size: 104
    .language:       OpenCL C
    .language_version:
      - 2
      - 0
    .max_flat_workgroup_size: 204
    .name:           bluestein_single_back_len884_dim1_half_op_CI_CI
    .private_segment_fixed_size: 160
    .sgpr_count:     48
    .sgpr_spill_count: 0
    .symbol:         bluestein_single_back_len884_dim1_half_op_CI_CI.kd
    .uniform_work_group_size: 1
    .uses_dynamic_stack: false
    .vgpr_count:     256
    .vgpr_spill_count: 39
    .wavefront_size: 64
amdhsa.target:   amdgcn-amd-amdhsa--gfx906
amdhsa.version:
  - 1
  - 2
...

	.end_amdgpu_metadata
